;; amdgpu-corpus repo=ROCm/rocSPARSE kind=compiled arch=gfx1030 opt=O3
	.amdgcn_target "amdgcn-amd-amdhsa--gfx1030"
	.amdhsa_code_object_version 6
	.section	.text._ZN9rocsparseL15bsrilu0_generalILj128ELj64ELb1EfEEv20rocsparse_direction_iPKiS3_PT2_S3_iPiS3_S6_21rocsparse_index_base_imNS_24const_host_device_scalarIfEENS8_IdEENS8_IS4_EEb,"axG",@progbits,_ZN9rocsparseL15bsrilu0_generalILj128ELj64ELb1EfEEv20rocsparse_direction_iPKiS3_PT2_S3_iPiS3_S6_21rocsparse_index_base_imNS_24const_host_device_scalarIfEENS8_IdEENS8_IS4_EEb,comdat
	.globl	_ZN9rocsparseL15bsrilu0_generalILj128ELj64ELb1EfEEv20rocsparse_direction_iPKiS3_PT2_S3_iPiS3_S6_21rocsparse_index_base_imNS_24const_host_device_scalarIfEENS8_IdEENS8_IS4_EEb ; -- Begin function _ZN9rocsparseL15bsrilu0_generalILj128ELj64ELb1EfEEv20rocsparse_direction_iPKiS3_PT2_S3_iPiS3_S6_21rocsparse_index_base_imNS_24const_host_device_scalarIfEENS8_IdEENS8_IS4_EEb
	.p2align	8
	.type	_ZN9rocsparseL15bsrilu0_generalILj128ELj64ELb1EfEEv20rocsparse_direction_iPKiS3_PT2_S3_iPiS3_S6_21rocsparse_index_base_imNS_24const_host_device_scalarIfEENS8_IdEENS8_IS4_EEb,@function
_ZN9rocsparseL15bsrilu0_generalILj128ELj64ELb1EfEEv20rocsparse_direction_iPKiS3_PT2_S3_iPiS3_S6_21rocsparse_index_base_imNS_24const_host_device_scalarIfEENS8_IdEENS8_IS4_EEb: ; @_ZN9rocsparseL15bsrilu0_generalILj128ELj64ELb1EfEEv20rocsparse_direction_iPKiS3_PT2_S3_iPiS3_S6_21rocsparse_index_base_imNS_24const_host_device_scalarIfEENS8_IdEENS8_IS4_EEb
; %bb.0:
	s_clause 0x2
	s_load_dword s0, s[4:5], 0x70
	s_load_dwordx2 s[24:25], s[4:5], 0x48
	s_load_dwordx8 s[16:23], s[4:5], 0x50
	s_waitcnt lgkmcnt(0)
	s_bitcmp1_b32 s0, 0
	s_cselect_b32 s0, -1, 0
	s_cmp_eq_u32 s25, 0
	s_cselect_b32 s2, -1, 0
	s_cmp_lg_u32 s25, 0
	s_cselect_b32 s25, -1, 0
	s_or_b32 s7, s2, s0
	s_xor_b32 s3, s7, -1
	s_and_b32 s0, s2, exec_lo
	s_cselect_b32 s1, 0, s21
	s_cselect_b32 s0, 0, s20
	s_and_b32 vcc_lo, exec_lo, s7
	s_cbranch_vccnz .LBB0_2
; %bb.1:
	s_load_dword s0, s[18:19], 0x0
	s_waitcnt lgkmcnt(0)
	v_mov_b32_e32 v19, s0
	s_mov_b64 s[0:1], s[20:21]
	s_branch .LBB0_3
.LBB0_2:
	v_cndmask_b32_e64 v19, s18, 0, s2
.LBB0_3:
	v_mov_b32_e32 v7, s1
	v_cndmask_b32_e64 v1, 0, 1, s3
	v_mov_b32_e32 v6, s0
	s_andn2_b32 vcc_lo, exec_lo, s3
	s_cbranch_vccnz .LBB0_5
; %bb.4:
	v_mov_b32_e32 v2, s20
	v_mov_b32_e32 v3, s21
	flat_load_dwordx2 v[6:7], v[2:3]
.LBB0_5:
	v_cmp_ne_u32_e32 vcc_lo, 1, v1
	s_cbranch_vccnz .LBB0_7
; %bb.6:
	s_load_dword s0, s[22:23], 0x0
	s_waitcnt lgkmcnt(0)
	v_mov_b32_e32 v18, s0
	s_branch .LBB0_8
.LBB0_7:
	v_cndmask_b32_e64 v18, s22, 0, s2
.LBB0_8:
	s_load_dwordx2 s[26:27], s[4:5], 0x0
	v_lshrrev_b32_e32 v1, 6, v0
	s_lshl_b32 s0, s6, 1
	v_and_or_b32 v1, 0x3fffffe, s0, v1
	s_mov_b32 s0, exec_lo
	s_waitcnt lgkmcnt(0)
	v_cmpx_gt_i32_e64 s27, v1
	s_cbranch_execz .LBB0_143
; %bb.9:
	s_clause 0x1
	s_load_dwordx4 s[20:23], s[4:5], 0x30
	s_load_dwordx2 s[6:7], s[4:5], 0x40
	v_lshlrev_b32_e32 v1, 2, v1
	s_load_dwordx8 s[8:15], s[4:5], 0x8
	v_and_b32_e32 v0, 63, v0
	s_mov_b32 s0, -1
	s_mov_b32 s19, exec_lo
	s_waitcnt lgkmcnt(0)
	global_load_dword v1, v1, s[22:23]
	s_waitcnt vmcnt(0)
	v_ashrrev_i32_e32 v2, 31, v1
	v_lshlrev_b64 v[2:3], 2, v[1:2]
	v_add_co_u32 v4, vcc_lo, s14, v2
	v_add_co_ci_u32_e64 v5, null, s15, v3, vcc_lo
	global_load_dword v4, v[4:5], off
	s_waitcnt vmcnt(0)
	v_cmpx_ne_u32_e32 -1, v4
	s_cbranch_execz .LBB0_137
; %bb.10:
	v_add_co_u32 v8, vcc_lo, s8, v2
	v_add_co_ci_u32_e64 v9, null, s9, v3, vcc_lo
	s_load_dword s18, s[4:5], 0x28
	s_mov_b32 s3, 0
	s_mov_b32 s5, exec_lo
	global_load_dwordx2 v[8:9], v[8:9], off
	s_waitcnt vmcnt(0)
	v_subrev_nc_u32_e32 v8, s24, v8
	v_subrev_nc_u32_e32 v17, s24, v9
	v_cmpx_lt_i32_e64 v8, v4
	s_cbranch_execz .LBB0_78
; %bb.11:
	v_add_nc_u32_e32 v10, v8, v0
	s_waitcnt lgkmcnt(0)
	v_mad_u64_u32 v[12:13], null, s18, v8, v[0:1]
	s_cmp_gt_i32 s18, 0
	v_cmp_gt_i32_e64 s0, s18, v0
	v_ashrrev_i32_e32 v11, 31, v10
	v_cmp_le_i32_e64 s1, s18, v0
	v_cmp_lt_i32_e64 s2, v10, v17
	s_cselect_b32 s22, -1, 0
	v_mul_lo_u32 v20, s18, v12
	v_lshlrev_b64 v[13:14], 2, v[10:11]
	s_cmp_lg_u32 s26, 0
	s_mov_b32 s28, 0
	s_cselect_b32 s23, -1, 0
	s_add_i32 s27, s27, 1
	s_mul_i32 s29, s18, s18
	v_add_co_u32 v11, vcc_lo, s10, v13
	v_add_co_ci_u32_e64 v12, null, s11, v14, vcc_lo
	v_add_nc_u32_e32 v21, 1, v20
	s_add_i32 s30, s18, 1
	s_lshl_b32 s31, s18, 6
	s_add_i32 s33, s18, -1
	s_mov_b32 s34, 0
                                        ; implicit-def: $sgpr35
                                        ; implicit-def: $sgpr36
	s_branch .LBB0_14
.LBB0_12:                               ;   in Loop: Header=BB0_14 Depth=1
	s_or_b32 exec_lo, exec_lo, s4
	s_andn2_b32 s4, s36, exec_lo
	s_and_b32 s28, s28, exec_lo
	s_or_b32 s36, s4, s28
.LBB0_13:                               ;   in Loop: Header=BB0_14 Depth=1
	s_or_b32 exec_lo, exec_lo, s37
	v_add_nc_u32_e32 v8, 1, v8
	s_xor_b32 s3, s3, -1
	v_add_nc_u32_e32 v21, s29, v21
	v_add_nc_u32_e32 v20, s29, v20
	s_mov_b32 s28, s36
	v_cmp_ge_i32_e32 vcc_lo, v8, v4
	s_or_b32 s3, s3, vcc_lo
	s_and_b32 s3, exec_lo, s3
	s_or_b32 s34, s3, s34
	s_andn2_b32 s3, s35, exec_lo
	s_and_b32 s4, s36, exec_lo
	s_or_b32 s35, s3, s4
	s_andn2_b32 exec_lo, exec_lo, s34
	s_cbranch_execz .LBB0_77
.LBB0_14:                               ; =>This Loop Header: Depth=1
                                        ;     Child Loop BB0_18 Depth 2
                                        ;       Child Loop BB0_19 Depth 3
                                        ;     Child Loop BB0_24 Depth 2
                                        ;       Child Loop BB0_29 Depth 3
                                        ;         Child Loop BB0_38 Depth 4
                                        ;     Child Loop BB0_51 Depth 2
                                        ;       Child Loop BB0_56 Depth 3
                                        ;       Child Loop BB0_63 Depth 3
                                        ;         Child Loop BB0_65 Depth 4
                                        ;           Child Loop BB0_67 Depth 5
	v_ashrrev_i32_e32 v9, 31, v8
	s_or_b32 s36, s36, exec_lo
	v_lshlrev_b64 v[13:14], 2, v[8:9]
	v_add_co_u32 v13, vcc_lo, s10, v13
	v_add_co_ci_u32_e64 v14, null, s11, v14, vcc_lo
	s_waitcnt lgkmcnt(0)
	global_load_dword v5, v[13:14], off
	s_waitcnt vmcnt(0)
	v_subrev_nc_u32_e32 v13, s24, v5
	v_ashrrev_i32_e32 v14, 31, v13
	v_lshlrev_b64 v[13:14], 2, v[13:14]
	v_add_co_u32 v15, vcc_lo, s14, v13
	v_add_co_ci_u32_e64 v16, null, s15, v14, vcc_lo
	global_load_dword v23, v[15:16], off
	s_waitcnt vmcnt(0)
	v_cmp_ne_u32_e64 s3, -1, v23
	s_and_saveexec_b32 s37, s3
	s_cbranch_execz .LBB0_13
; %bb.15:                               ;   in Loop: Header=BB0_14 Depth=1
	v_add_co_u32 v15, vcc_lo, s8, v13
	v_add_co_ci_u32_e64 v16, null, s9, v14, vcc_lo
	v_add_co_u32 v13, vcc_lo, s20, v13
	v_add_co_ci_u32_e64 v14, null, s21, v14, vcc_lo
	global_load_dword v24, v[15:16], off offset:4
	global_load_dword v5, v[13:14], off glc dlc
	s_mov_b32 s4, exec_lo
	s_waitcnt vmcnt(0)
	v_cmpx_eq_u32_e32 0, v5
	s_cbranch_execz .LBB0_20
; %bb.16:                               ;   in Loop: Header=BB0_14 Depth=1
	s_mov_b32 s38, 0
	s_mov_b32 s39, 0
	s_branch .LBB0_18
	.p2align	6
.LBB0_17:                               ;   in Loop: Header=BB0_18 Depth=2
	global_load_dword v5, v[13:14], off glc dlc
	s_cmpk_lt_u32 s39, 0xf43
	s_cselect_b32 s40, -1, 0
	s_cmp_lg_u32 s40, 0
	s_addc_u32 s39, s39, 0
	s_waitcnt vmcnt(0)
	v_cmp_ne_u32_e32 vcc_lo, 0, v5
	s_or_b32 s38, vcc_lo, s38
	s_andn2_b32 exec_lo, exec_lo, s38
	s_cbranch_execz .LBB0_20
.LBB0_18:                               ;   Parent Loop BB0_14 Depth=1
                                        ; =>  This Loop Header: Depth=2
                                        ;       Child Loop BB0_19 Depth 3
	s_cmp_eq_u32 s39, 0
	s_mov_b32 s40, s39
	s_cbranch_scc1 .LBB0_17
.LBB0_19:                               ;   Parent Loop BB0_14 Depth=1
                                        ;     Parent Loop BB0_18 Depth=2
                                        ; =>    This Inner Loop Header: Depth=3
	s_add_i32 s40, s40, -1
	s_sleep 1
	s_cmp_eq_u32 s40, 0
	s_cbranch_scc0 .LBB0_19
	s_branch .LBB0_17
.LBB0_20:                               ;   in Loop: Header=BB0_14 Depth=1
	s_or_b32 exec_lo, exec_lo, s4
	v_mul_lo_u32 v22, v8, s18
	s_andn2_b32 vcc_lo, exec_lo, s22
	buffer_gl1_inv
	buffer_gl0_inv
	s_cbranch_vccnz .LBB0_47
; %bb.21:                               ;   in Loop: Header=BB0_14 Depth=1
	v_mul_lo_u32 v25, v23, s18
	v_mad_u64_u32 v[13:14], null, s29, v23, 1
	v_mov_b32_e32 v5, 0
	v_mov_b32_e32 v26, v21
	s_mov_b32 s38, 0
	s_mov_b32 s39, s33
	s_branch .LBB0_24
.LBB0_22:                               ;   in Loop: Header=BB0_24 Depth=2
	s_or_b32 exec_lo, exec_lo, s41
	v_mov_b32_e32 v5, v27
.LBB0_23:                               ;   in Loop: Header=BB0_24 Depth=2
	s_or_b32 exec_lo, exec_lo, s40
	v_cmp_eq_u32_e32 vcc_lo, s18, v5
	v_add_nc_u32_e32 v13, s30, v13
	v_add_nc_u32_e32 v26, 1, v26
	s_add_i32 s39, s39, -1
	s_or_b32 s38, vcc_lo, s38
	s_andn2_b32 exec_lo, exec_lo, s38
	s_cbranch_execz .LBB0_46
.LBB0_24:                               ;   Parent Loop BB0_14 Depth=1
                                        ; =>  This Loop Header: Depth=2
                                        ;       Child Loop BB0_29 Depth 3
                                        ;         Child Loop BB0_38 Depth 4
	v_add_nc_u32_e32 v27, 1, v5
	s_and_saveexec_b32 s4, s1
	s_xor_b32 s4, exec_lo, s4
; %bb.25:                               ;   in Loop: Header=BB0_24 Depth=2
	v_add_nc_u32_e32 v5, 1, v5
                                        ; implicit-def: $vgpr27
; %bb.26:                               ;   in Loop: Header=BB0_24 Depth=2
	s_andn2_saveexec_b32 s40, s4
	s_cbranch_execz .LBB0_23
; %bb.27:                               ;   in Loop: Header=BB0_24 Depth=2
	v_add_nc_u32_e32 v9, v5, v25
	v_cmp_gt_i32_e64 s4, s18, v27
	v_mov_b32_e32 v30, v26
	s_mov_b32 s41, 0
	v_mad_u64_u32 v[14:15], null, v9, s18, v[5:6]
	v_add_nc_u32_e32 v9, v5, v22
	v_mul_lo_u32 v29, v9, s18
	v_ashrrev_i32_e32 v15, 31, v14
	v_mov_b32_e32 v9, v0
	v_lshlrev_b64 v[14:15], 2, v[14:15]
	v_add_co_u32 v14, vcc_lo, s12, v14
	v_add_co_ci_u32_e64 v15, null, s13, v15, vcc_lo
	global_load_dword v28, v[14:15], off
	s_branch .LBB0_29
.LBB0_28:                               ;   in Loop: Header=BB0_29 Depth=3
	s_or_b32 exec_lo, exec_lo, s42
	v_add_nc_u32_e32 v9, 64, v9
	v_add_nc_u32_e32 v30, s31, v30
	v_cmp_le_i32_e32 vcc_lo, s18, v9
	s_or_b32 s41, vcc_lo, s41
	s_andn2_b32 exec_lo, exec_lo, s41
	s_cbranch_execz .LBB0_22
.LBB0_29:                               ;   Parent Loop BB0_14 Depth=1
                                        ;     Parent Loop BB0_24 Depth=2
                                        ; =>    This Loop Header: Depth=3
                                        ;         Child Loop BB0_38 Depth 4
	v_add_nc_u32_e32 v14, v9, v29
	s_and_b32 vcc_lo, exec_lo, s23
	s_cbranch_vccz .LBB0_44
; %bb.30:                               ;   in Loop: Header=BB0_29 Depth=3
	v_add_nc_u32_e32 v15, v9, v29
	v_add_nc_u32_e32 v31, v9, v22
	s_cbranch_execnz .LBB0_32
.LBB0_31:                               ;   in Loop: Header=BB0_29 Depth=3
	v_mad_u64_u32 v[15:16], null, v31, s18, v[5:6]
.LBB0_32:                               ;   in Loop: Header=BB0_29 Depth=3
	v_ashrrev_i32_e32 v16, 31, v15
	v_lshlrev_b64 v[15:16], 2, v[15:16]
	v_add_co_u32 v15, vcc_lo, s12, v15
	v_add_co_ci_u32_e64 v16, null, s13, v16, vcc_lo
	s_and_b32 vcc_lo, exec_lo, s23
	global_load_dword v16, v[15:16], off
	s_cbranch_vccz .LBB0_45
; %bb.33:                               ;   in Loop: Header=BB0_29 Depth=3
	s_cbranch_execnz .LBB0_35
.LBB0_34:                               ;   in Loop: Header=BB0_29 Depth=3
	v_mad_u64_u32 v[14:15], null, v31, s18, v[5:6]
.LBB0_35:                               ;   in Loop: Header=BB0_29 Depth=3
	s_waitcnt vmcnt(0)
	v_div_scale_f32 v15, null, v28, v28, v16
	v_div_scale_f32 v33, vcc_lo, v16, v28, v16
	v_rcp_f32_e32 v31, v15
	v_fma_f32 v32, -v15, v31, 1.0
	v_fmac_f32_e32 v31, v32, v31
	v_mul_f32_e32 v32, v33, v31
	v_fma_f32 v34, -v15, v32, v33
	v_fmac_f32_e32 v32, v34, v31
	v_fma_f32 v33, -v15, v32, v33
	v_ashrrev_i32_e32 v15, 31, v14
	v_div_fmas_f32 v31, v33, v31, v32
	v_lshlrev_b64 v[14:15], 2, v[14:15]
	v_div_fixup_f32 v16, v31, v28, v16
	v_add_co_u32 v14, vcc_lo, s12, v14
	v_add_co_ci_u32_e64 v15, null, s13, v15, vcc_lo
	global_store_dword v[14:15], v16, off
	s_and_saveexec_b32 s42, s4
	s_cbranch_execz .LBB0_28
; %bb.36:                               ;   in Loop: Header=BB0_29 Depth=3
	v_mov_b32_e32 v31, v30
	v_mov_b32_e32 v32, v13
	;; [unrolled: 1-line block ×3, first 2 shown]
	s_mov_b32 s43, s39
	s_branch .LBB0_38
.LBB0_37:                               ;   in Loop: Header=BB0_38 Depth=4
	v_ashrrev_i32_e32 v15, 31, v14
	s_waitcnt vmcnt(0)
	v_fma_f32 v34, -v16, v34, v36
	v_add_nc_u32_e32 v33, 1, v33
	v_add_nc_u32_e32 v32, 1, v32
	;; [unrolled: 1-line block ×3, first 2 shown]
	v_lshlrev_b64 v[14:15], 2, v[14:15]
	s_add_i32 s43, s43, -1
	s_cmp_eq_u32 s43, 0
	v_add_co_u32 v14, vcc_lo, s12, v14
	v_add_co_ci_u32_e64 v15, null, s13, v15, vcc_lo
	global_store_dword v[14:15], v34, off
	s_cbranch_scc1 .LBB0_28
.LBB0_38:                               ;   Parent Loop BB0_14 Depth=1
                                        ;     Parent Loop BB0_24 Depth=2
                                        ;       Parent Loop BB0_29 Depth=3
                                        ; =>      This Inner Loop Header: Depth=4
	v_mov_b32_e32 v14, v32
	s_andn2_b32 vcc_lo, exec_lo, s23
	s_cbranch_vccnz .LBB0_40
; %bb.39:                               ;   in Loop: Header=BB0_38 Depth=4
	v_add_nc_u32_e32 v14, v33, v25
	v_mad_u64_u32 v[14:15], null, v14, s18, v[5:6]
.LBB0_40:                               ;   in Loop: Header=BB0_38 Depth=4
	v_ashrrev_i32_e32 v15, 31, v14
	v_add_nc_u32_e32 v35, v33, v22
	v_lshlrev_b64 v[14:15], 2, v[14:15]
	v_add_co_u32 v14, vcc_lo, s12, v14
	v_add_co_ci_u32_e64 v15, null, s13, v15, vcc_lo
	s_andn2_b32 vcc_lo, exec_lo, s23
	global_load_dword v34, v[14:15], off
	v_mov_b32_e32 v14, v31
	s_cbranch_vccnz .LBB0_42
; %bb.41:                               ;   in Loop: Header=BB0_38 Depth=4
	v_mad_u64_u32 v[14:15], null, v35, s18, v[9:10]
.LBB0_42:                               ;   in Loop: Header=BB0_38 Depth=4
	v_ashrrev_i32_e32 v15, 31, v14
	v_lshlrev_b64 v[14:15], 2, v[14:15]
	v_add_co_u32 v14, vcc_lo, s12, v14
	v_add_co_ci_u32_e64 v15, null, s13, v15, vcc_lo
	s_andn2_b32 vcc_lo, exec_lo, s23
	global_load_dword v36, v[14:15], off
	v_mov_b32_e32 v14, v31
	s_cbranch_vccnz .LBB0_37
; %bb.43:                               ;   in Loop: Header=BB0_38 Depth=4
	v_mad_u64_u32 v[14:15], null, v35, s18, v[9:10]
	s_branch .LBB0_37
.LBB0_44:                               ;   in Loop: Header=BB0_29 Depth=3
                                        ; implicit-def: $vgpr15
	v_add_nc_u32_e32 v31, v9, v22
	s_branch .LBB0_31
.LBB0_45:                               ;   in Loop: Header=BB0_29 Depth=3
                                        ; implicit-def: $vgpr14
	s_branch .LBB0_34
.LBB0_46:                               ;   in Loop: Header=BB0_14 Depth=1
	s_or_b32 exec_lo, exec_lo, s38
.LBB0_47:                               ;   in Loop: Header=BB0_14 Depth=1
	v_subrev_nc_u32_e32 v9, s24, v24
	v_add_nc_u32_e32 v13, 1, v23
	s_mov_b32 s4, exec_lo
	v_cmpx_lt_i32_e64 v13, v9
	s_cbranch_execz .LBB0_12
; %bb.48:                               ;   in Loop: Header=BB0_14 Depth=1
	v_mul_lo_u32 v16, s29, v13
	s_mov_b32 s38, 0
	s_branch .LBB0_51
.LBB0_49:                               ;   in Loop: Header=BB0_51 Depth=2
	s_or_b32 exec_lo, exec_lo, s39
.LBB0_50:                               ;   in Loop: Header=BB0_51 Depth=2
	v_add_nc_u32_e32 v13, 1, v13
	v_add_nc_u32_e32 v16, s29, v16
	v_cmp_ge_i32_e32 vcc_lo, v13, v9
	s_or_b32 s38, vcc_lo, s38
	s_andn2_b32 exec_lo, exec_lo, s38
	s_cbranch_execz .LBB0_12
.LBB0_51:                               ;   Parent Loop BB0_14 Depth=1
                                        ; =>  This Loop Header: Depth=2
                                        ;       Child Loop BB0_56 Depth 3
                                        ;       Child Loop BB0_63 Depth 3
                                        ;         Child Loop BB0_65 Depth 4
                                        ;           Child Loop BB0_67 Depth 5
	v_ashrrev_i32_e32 v14, 31, v13
	v_lshlrev_b64 v[14:15], 2, v[13:14]
	v_add_co_u32 v14, vcc_lo, s10, v14
	v_add_co_ci_u32_e64 v15, null, s11, v15, vcc_lo
	s_waitcnt lgkmcnt(0)
	global_load_dword v5, v[14:15], off
	v_mov_b32_e32 v15, s27
	s_and_saveexec_b32 s39, s2
	s_cbranch_execz .LBB0_53
; %bb.52:                               ;   in Loop: Header=BB0_51 Depth=2
	global_load_dword v14, v[11:12], off
	s_waitcnt vmcnt(0)
	v_subrev_nc_u32_e32 v15, s24, v14
.LBB0_53:                               ;   in Loop: Header=BB0_51 Depth=2
	s_or_b32 exec_lo, exec_lo, s39
	s_waitcnt vmcnt(0)
	v_subrev_nc_u32_e32 v5, s24, v5
	v_mov_b32_e32 v23, v10
	s_mov_b32 s39, exec_lo
	v_cmpx_lt_i32_e64 v15, v5
	s_cbranch_execz .LBB0_59
; %bb.54:                               ;   in Loop: Header=BB0_51 Depth=2
	v_mov_b32_e32 v14, v10
	s_mov_b32 s40, 0
	s_branch .LBB0_56
	.p2align	6
.LBB0_55:                               ;   in Loop: Header=BB0_56 Depth=3
	s_or_b32 exec_lo, exec_lo, s41
	v_cmp_ge_i32_e32 vcc_lo, v15, v5
	v_mov_b32_e32 v14, v23
	s_or_b32 s40, vcc_lo, s40
	s_andn2_b32 exec_lo, exec_lo, s40
	s_cbranch_execz .LBB0_58
.LBB0_56:                               ;   Parent Loop BB0_14 Depth=1
                                        ;     Parent Loop BB0_51 Depth=2
                                        ; =>    This Inner Loop Header: Depth=3
	v_add_nc_u32_e32 v23, 64, v14
	v_mov_b32_e32 v15, s27
	s_mov_b32 s41, exec_lo
	v_cmpx_lt_i32_e64 v23, v17
	s_cbranch_execz .LBB0_55
; %bb.57:                               ;   in Loop: Header=BB0_56 Depth=3
	v_ashrrev_i32_e32 v15, 31, v14
	v_lshlrev_b64 v[14:15], 2, v[14:15]
	v_add_co_u32 v14, vcc_lo, s10, v14
	v_add_co_ci_u32_e64 v15, null, s11, v15, vcc_lo
	global_load_dword v14, v[14:15], off offset:256
	s_waitcnt vmcnt(0)
	v_subrev_nc_u32_e32 v15, s24, v14
	s_branch .LBB0_55
.LBB0_58:                               ;   in Loop: Header=BB0_51 Depth=2
	s_or_b32 exec_lo, exec_lo, s40
.LBB0_59:                               ;   in Loop: Header=BB0_51 Depth=2
	s_or_b32 exec_lo, exec_lo, s39
	v_cmp_eq_u32_e32 vcc_lo, v15, v5
	s_cbranch_vccz .LBB0_50
; %bb.60:                               ;   in Loop: Header=BB0_51 Depth=2
	s_ff1_i32_b32 s39, vcc_lo
	s_lshl_b32 s39, s39, 2
	v_mov_b32_e32 v5, s39
	ds_bpermute_b32 v5, v5, v23
	s_and_saveexec_b32 s39, s0
	s_cbranch_execz .LBB0_49
; %bb.61:                               ;   in Loop: Header=BB0_51 Depth=2
	v_mul_lo_u32 v23, v13, s18
	s_waitcnt lgkmcnt(0)
	v_mul_lo_u32 v24, v5, s18
	v_mov_b32_e32 v25, v20
	v_mov_b32_e32 v5, v0
	s_mov_b32 s40, 0
	s_branch .LBB0_63
.LBB0_62:                               ;   in Loop: Header=BB0_63 Depth=3
	v_add_nc_u32_e32 v5, 64, v5
	v_add_nc_u32_e32 v25, s31, v25
	v_cmp_le_i32_e32 vcc_lo, s18, v5
	s_or_b32 s40, vcc_lo, s40
	s_andn2_b32 exec_lo, exec_lo, s40
	s_cbranch_execz .LBB0_49
.LBB0_63:                               ;   Parent Loop BB0_14 Depth=1
                                        ;     Parent Loop BB0_51 Depth=2
                                        ; =>    This Loop Header: Depth=3
                                        ;         Child Loop BB0_65 Depth 4
                                        ;           Child Loop BB0_67 Depth 5
	v_add_nc_u32_e32 v14, v5, v24
	v_mov_b32_e32 v27, v16
	s_mov_b32 s41, 0
	v_mul_lo_u32 v26, v14, s18
	s_branch .LBB0_65
.LBB0_64:                               ;   in Loop: Header=BB0_65 Depth=4
	v_ashrrev_i32_e32 v15, 31, v14
	v_add_nc_u32_e32 v27, 1, v27
	s_add_i32 s41, s41, 1
	s_cmp_eq_u32 s41, s18
	v_lshlrev_b64 v[14:15], 2, v[14:15]
	v_add_co_u32 v14, vcc_lo, s12, v14
	v_add_co_ci_u32_e64 v15, null, s13, v15, vcc_lo
	global_load_dword v29, v[14:15], off
	s_waitcnt vmcnt(0)
	v_sub_f32_e32 v28, v29, v28
	global_store_dword v[14:15], v28, off
	s_cbranch_scc1 .LBB0_62
.LBB0_65:                               ;   Parent Loop BB0_14 Depth=1
                                        ;     Parent Loop BB0_51 Depth=2
                                        ;       Parent Loop BB0_63 Depth=3
                                        ; =>      This Loop Header: Depth=4
                                        ;           Child Loop BB0_67 Depth 5
	v_add_nc_u32_e32 v14, s41, v23
	v_mov_b32_e32 v28, 0
	v_mov_b32_e32 v30, v27
	s_mov_b32 s42, 0
	v_mul_lo_u32 v29, v14, s18
	s_inst_prefetch 0x1
	s_branch .LBB0_67
	.p2align	6
.LBB0_66:                               ;   in Loop: Header=BB0_67 Depth=5
	v_ashrrev_i32_e32 v15, 31, v14
	v_add_nc_u32_e32 v30, s18, v30
	s_add_i32 s42, s42, 1
	s_cmp_eq_u32 s18, s42
	v_lshlrev_b64 v[14:15], 2, v[14:15]
	v_add_co_u32 v14, vcc_lo, s12, v14
	v_add_co_ci_u32_e64 v15, null, s13, v15, vcc_lo
	global_load_dword v14, v[14:15], off
	s_waitcnt vmcnt(0)
	v_fmac_f32_e32 v28, v31, v14
	s_cbranch_scc1 .LBB0_73
.LBB0_67:                               ;   Parent Loop BB0_14 Depth=1
                                        ;     Parent Loop BB0_51 Depth=2
                                        ;       Parent Loop BB0_63 Depth=3
                                        ;         Parent Loop BB0_65 Depth=4
                                        ; =>        This Inner Loop Header: Depth=5
	s_and_b32 vcc_lo, exec_lo, s23
	s_cbranch_vccz .LBB0_72
; %bb.68:                               ;   in Loop: Header=BB0_67 Depth=5
	v_add_nc_u32_e32 v14, s42, v22
	v_mad_u64_u32 v[14:15], null, v14, s18, v[5:6]
	s_cbranch_execnz .LBB0_70
.LBB0_69:                               ;   in Loop: Header=BB0_67 Depth=5
	v_add_nc_u32_e32 v14, s42, v25
.LBB0_70:                               ;   in Loop: Header=BB0_67 Depth=5
	v_ashrrev_i32_e32 v15, 31, v14
	v_lshlrev_b64 v[14:15], 2, v[14:15]
	v_add_co_u32 v14, vcc_lo, s12, v14
	v_add_co_ci_u32_e64 v15, null, s13, v15, vcc_lo
	s_andn2_b32 vcc_lo, exec_lo, s23
	global_load_dword v31, v[14:15], off
	v_mov_b32_e32 v14, v30
	s_cbranch_vccnz .LBB0_66
; %bb.71:                               ;   in Loop: Header=BB0_67 Depth=5
	v_add_nc_u32_e32 v14, s42, v29
	s_branch .LBB0_66
.LBB0_72:                               ;   in Loop: Header=BB0_67 Depth=5
                                        ; implicit-def: $vgpr14
	s_branch .LBB0_69
.LBB0_73:                               ;   in Loop: Header=BB0_65 Depth=4
	s_inst_prefetch 0x2
	s_and_b32 vcc_lo, exec_lo, s23
	s_cbranch_vccz .LBB0_75
; %bb.74:                               ;   in Loop: Header=BB0_65 Depth=4
	v_add_nc_u32_e32 v14, s41, v24
	v_mad_u64_u32 v[14:15], null, v14, s18, v[5:6]
	s_cbranch_execnz .LBB0_64
	s_branch .LBB0_76
.LBB0_75:                               ;   in Loop: Header=BB0_65 Depth=4
                                        ; implicit-def: $vgpr14
.LBB0_76:                               ;   in Loop: Header=BB0_65 Depth=4
	v_add_nc_u32_e32 v14, s41, v26
	s_branch .LBB0_64
.LBB0_77:
	s_or_b32 exec_lo, exec_lo, s34
	s_and_b32 s3, s35, exec_lo
.LBB0_78:
	s_or_b32 exec_lo, exec_lo, s5
	s_waitcnt lgkmcnt(0)
	v_ashrrev_i32_e32 v5, 31, v4
	s_cmp_gt_i32 s18, 0
	s_mov_b32 s8, 0
	s_cselect_b32 s4, -1, 0
	v_lshlrev_b64 v[8:9], 2, v[4:5]
	v_add_co_u32 v8, vcc_lo, s10, v8
	v_add_co_ci_u32_e64 v9, null, s11, v9, vcc_lo
	global_load_dword v5, v[8:9], off
	s_waitcnt vmcnt(0)
	v_subrev_nc_u32_e32 v5, s24, v5
	v_cmp_eq_u32_e32 vcc_lo, v5, v1
	s_and_b32 s0, s4, vcc_lo
	s_and_saveexec_b32 s5, s0
	s_cbranch_execz .LBB0_112
; %bb.79:
	v_cvt_f64_f32_e32 v[11:12], v19
	v_mul_lo_u32 v14, v4, s18
	s_cmp_eq_u64 s[16:17], 8
	s_mul_i32 s1, s18, s18
	s_cselect_b32 vcc_lo, -1, 0
	s_cmp_lg_u32 s26, 0
	v_mad_u64_u32 v[8:9], null, v4, s1, 1
	s_cselect_b32 s9, -1, 0
	v_add_nc_u32_e32 v10, v14, v0
	s_add_i32 s2, s18, 1
	v_cmp_eq_u32_e64 s0, 0, v0
	v_mov_b32_e32 v5, 0
	s_lshl_b32 s10, s18, 6
	v_mad_u64_u32 v[9:10], null, s18, v10, s[2:3]
	s_add_i32 s11, s18, -1
	s_mov_b32 s15, s3
                                        ; implicit-def: $sgpr14
	v_cndmask_b32_e32 v7, v12, v7, vcc_lo
	v_cndmask_b32_e32 v6, v11, v6, vcc_lo
	s_branch .LBB0_81
.LBB0_80:                               ;   in Loop: Header=BB0_81 Depth=1
	s_or_b32 exec_lo, exec_lo, s1
	v_cmp_eq_u32_e32 vcc_lo, s18, v19
	s_add_i32 s11, s11, -1
	v_add_nc_u32_e32 v8, s2, v8
	v_add_nc_u32_e32 v9, s2, v9
	v_mov_b32_e32 v5, v19
	s_or_b32 s8, vcc_lo, s8
	s_andn2_b32 s1, s14, exec_lo
	s_and_b32 s14, s15, exec_lo
	s_or_b32 s14, s1, s14
	s_andn2_b32 exec_lo, exec_lo, s8
	s_cbranch_execz .LBB0_111
.LBB0_81:                               ; =>This Loop Header: Depth=1
                                        ;     Child Loop BB0_91 Depth 2
                                        ;       Child Loop BB0_100 Depth 3
	v_add_nc_u32_e32 v10, v5, v14
	s_mov_b32 s16, 0
	s_mov_b32 s1, 0
	s_mov_b32 s17, -1
                                        ; implicit-def: $vgpr12
	v_mul_lo_u32 v15, v10, s18
	v_add_nc_u32_e32 v10, v15, v5
	v_ashrrev_i32_e32 v11, 31, v10
	v_lshlrev_b64 v[10:11], 2, v[10:11]
	v_add_co_u32 v10, vcc_lo, s12, v10
	v_add_co_ci_u32_e64 v11, null, s13, v11, vcc_lo
	s_andn2_b32 vcc_lo, exec_lo, s25
	global_load_dword v16, v[10:11], off
	s_cbranch_vccnz .LBB0_85
; %bb.82:                               ;   in Loop: Header=BB0_81 Depth=1
	s_waitcnt vmcnt(0)
	v_cmp_gt_f32_e32 vcc_lo, 0, v16
	v_cndmask_b32_e64 v12, v16, -v16, vcc_lo
	v_cvt_f64_f32_e32 v[12:13], v12
	v_cmp_ge_f64_e32 vcc_lo, v[6:7], v[12:13]
	v_cndmask_b32_e32 v12, v16, v18, vcc_lo
	s_and_saveexec_b32 s1, s0
	s_cbranch_execz .LBB0_84
; %bb.83:                               ;   in Loop: Header=BB0_81 Depth=1
	global_store_dword v[10:11], v12, off
.LBB0_84:                               ;   in Loop: Header=BB0_81 Depth=1
	s_or_b32 exec_lo, exec_lo, s1
	s_mov_b32 s17, 0
	s_mov_b32 s1, -1
.LBB0_85:                               ;   in Loop: Header=BB0_81 Depth=1
	s_andn2_b32 vcc_lo, exec_lo, s17
	s_cbranch_vccnz .LBB0_87
; %bb.86:                               ;   in Loop: Header=BB0_81 Depth=1
	s_waitcnt vmcnt(0)
	v_cmp_neq_f32_e32 vcc_lo, 0, v16
	s_andn2_b32 s1, s1, exec_lo
	s_mov_b32 s16, -1
	s_and_b32 s17, vcc_lo, exec_lo
	s_or_b32 s1, s1, s17
                                        ; implicit-def: $vgpr19
	s_and_saveexec_b32 s17, s1
	s_xor_b32 s17, exec_lo, s17
	s_cbranch_execnz .LBB0_88
	s_branch .LBB0_109
.LBB0_87:                               ;   in Loop: Header=BB0_81 Depth=1
	s_waitcnt vmcnt(0)
	v_mov_b32_e32 v16, v12
                                        ; implicit-def: $vgpr19
	s_and_saveexec_b32 s17, s1
	s_xor_b32 s17, exec_lo, s17
	s_cbranch_execz .LBB0_109
.LBB0_88:                               ;   in Loop: Header=BB0_81 Depth=1
	v_add_nc_u32_e32 v19, 1, v5
	s_mov_b32 s22, exec_lo
	v_add_nc_u32_e32 v10, v19, v0
	v_cmpx_gt_i32_e64 s18, v10
	s_cbranch_execz .LBB0_108
; %bb.89:                               ;   in Loop: Header=BB0_81 Depth=1
	v_cmp_gt_i32_e64 s1, s18, v19
	v_mov_b32_e32 v20, v9
	s_mov_b32 s23, 0
	s_branch .LBB0_91
.LBB0_90:                               ;   in Loop: Header=BB0_91 Depth=2
	s_or_b32 exec_lo, exec_lo, s27
	v_add_nc_u32_e32 v10, 64, v10
	v_add_nc_u32_e32 v20, s10, v20
	v_cmp_le_i32_e32 vcc_lo, s18, v10
	s_or_b32 s23, vcc_lo, s23
	s_andn2_b32 exec_lo, exec_lo, s23
	s_cbranch_execz .LBB0_108
.LBB0_91:                               ;   Parent Loop BB0_81 Depth=1
                                        ; =>  This Loop Header: Depth=2
                                        ;       Child Loop BB0_100 Depth 3
	v_add_nc_u32_e32 v11, v10, v15
	s_and_b32 vcc_lo, exec_lo, s9
	s_cbranch_vccz .LBB0_106
; %bb.92:                               ;   in Loop: Header=BB0_91 Depth=2
	v_add_nc_u32_e32 v12, v10, v15
	s_cbranch_execnz .LBB0_94
.LBB0_93:                               ;   in Loop: Header=BB0_91 Depth=2
	v_add_nc_u32_e32 v12, v10, v14
	v_mad_u64_u32 v[12:13], null, v12, s18, v[5:6]
.LBB0_94:                               ;   in Loop: Header=BB0_91 Depth=2
	v_ashrrev_i32_e32 v13, 31, v12
	v_lshlrev_b64 v[12:13], 2, v[12:13]
	v_add_co_u32 v12, vcc_lo, s12, v12
	v_add_co_ci_u32_e64 v13, null, s13, v13, vcc_lo
	s_and_b32 vcc_lo, exec_lo, s9
	global_load_dword v13, v[12:13], off
	s_cbranch_vccz .LBB0_107
; %bb.95:                               ;   in Loop: Header=BB0_91 Depth=2
	s_cbranch_execnz .LBB0_97
.LBB0_96:                               ;   in Loop: Header=BB0_91 Depth=2
	v_add_nc_u32_e32 v11, v10, v14
	v_mad_u64_u32 v[11:12], null, v11, s18, v[5:6]
.LBB0_97:                               ;   in Loop: Header=BB0_91 Depth=2
	s_waitcnt vmcnt(0)
	v_div_scale_f32 v12, null, v16, v16, v13
	v_div_scale_f32 v23, vcc_lo, v13, v16, v13
	v_rcp_f32_e32 v21, v12
	v_fma_f32 v22, -v12, v21, 1.0
	v_fmac_f32_e32 v21, v22, v21
	v_mul_f32_e32 v22, v23, v21
	v_fma_f32 v24, -v12, v22, v23
	v_fmac_f32_e32 v22, v24, v21
	v_fma_f32 v23, -v12, v22, v23
	v_ashrrev_i32_e32 v12, 31, v11
	v_div_fmas_f32 v21, v23, v21, v22
	v_lshlrev_b64 v[11:12], 2, v[11:12]
	v_div_fixup_f32 v13, v21, v16, v13
	v_add_co_u32 v11, vcc_lo, s12, v11
	v_add_co_ci_u32_e64 v12, null, s13, v12, vcc_lo
	global_store_dword v[11:12], v13, off
	s_and_saveexec_b32 s27, s1
	s_cbranch_execz .LBB0_90
; %bb.98:                               ;   in Loop: Header=BB0_91 Depth=2
	v_mov_b32_e32 v21, v20
	v_mov_b32_e32 v22, v8
	v_mov_b32_e32 v23, v19
	s_mov_b32 s28, s11
	s_branch .LBB0_100
.LBB0_99:                               ;   in Loop: Header=BB0_100 Depth=3
	v_ashrrev_i32_e32 v12, 31, v11
	s_waitcnt vmcnt(0)
	v_fma_f32 v24, -v13, v25, v26
	v_add_nc_u32_e32 v23, 1, v23
	v_add_nc_u32_e32 v22, 1, v22
	;; [unrolled: 1-line block ×3, first 2 shown]
	v_lshlrev_b64 v[11:12], 2, v[11:12]
	s_add_i32 s28, s28, -1
	s_cmp_eq_u32 s28, 0
	v_add_co_u32 v11, vcc_lo, s12, v11
	v_add_co_ci_u32_e64 v12, null, s13, v12, vcc_lo
	global_store_dword v[11:12], v24, off
	s_cbranch_scc1 .LBB0_90
.LBB0_100:                              ;   Parent Loop BB0_81 Depth=1
                                        ;     Parent Loop BB0_91 Depth=2
                                        ; =>    This Inner Loop Header: Depth=3
	v_add_nc_u32_e32 v24, v23, v14
	v_mov_b32_e32 v11, v22
	s_andn2_b32 vcc_lo, exec_lo, s9
	s_cbranch_vccnz .LBB0_102
; %bb.101:                              ;   in Loop: Header=BB0_100 Depth=3
	v_mad_u64_u32 v[11:12], null, v24, s18, v[5:6]
.LBB0_102:                              ;   in Loop: Header=BB0_100 Depth=3
	v_ashrrev_i32_e32 v12, 31, v11
	v_lshlrev_b64 v[11:12], 2, v[11:12]
	v_add_co_u32 v11, vcc_lo, s12, v11
	v_add_co_ci_u32_e64 v12, null, s13, v12, vcc_lo
	s_andn2_b32 vcc_lo, exec_lo, s9
	global_load_dword v25, v[11:12], off
	v_mov_b32_e32 v11, v21
	s_cbranch_vccnz .LBB0_104
; %bb.103:                              ;   in Loop: Header=BB0_100 Depth=3
	v_mad_u64_u32 v[11:12], null, v24, s18, v[10:11]
.LBB0_104:                              ;   in Loop: Header=BB0_100 Depth=3
	v_ashrrev_i32_e32 v12, 31, v11
	v_lshlrev_b64 v[11:12], 2, v[11:12]
	v_add_co_u32 v11, vcc_lo, s12, v11
	v_add_co_ci_u32_e64 v12, null, s13, v12, vcc_lo
	s_andn2_b32 vcc_lo, exec_lo, s9
	global_load_dword v26, v[11:12], off
	v_mov_b32_e32 v11, v21
	s_cbranch_vccnz .LBB0_99
; %bb.105:                              ;   in Loop: Header=BB0_100 Depth=3
	v_mad_u64_u32 v[11:12], null, v24, s18, v[10:11]
	s_branch .LBB0_99
.LBB0_106:                              ;   in Loop: Header=BB0_91 Depth=2
                                        ; implicit-def: $vgpr12
	s_branch .LBB0_93
.LBB0_107:                              ;   in Loop: Header=BB0_91 Depth=2
                                        ; implicit-def: $vgpr11
	s_branch .LBB0_96
.LBB0_108:                              ;   in Loop: Header=BB0_81 Depth=1
	s_or_b32 exec_lo, exec_lo, s22
	s_andn2_b32 s16, s16, exec_lo
.LBB0_109:                              ;   in Loop: Header=BB0_81 Depth=1
	s_or_b32 exec_lo, exec_lo, s17
	s_andn2_b32 s1, s15, exec_lo
	s_and_b32 s15, s15, exec_lo
	s_or_b32 s15, s1, s15
	s_and_saveexec_b32 s1, s16
	s_cbranch_execz .LBB0_80
; %bb.110:                              ;   in Loop: Header=BB0_81 Depth=1
	v_add_nc_u32_e32 v19, 1, v5
	s_or_b32 s15, s15, exec_lo
	s_branch .LBB0_80
.LBB0_111:
	s_or_b32 exec_lo, exec_lo, s8
	s_andn2_b32 s0, s3, exec_lo
	s_and_b32 s1, s14, exec_lo
	s_or_b32 s3, s0, s1
.LBB0_112:
	s_or_b32 exec_lo, exec_lo, s5
	v_add_nc_u32_e32 v9, 1, v4
	s_mov_b32 s1, exec_lo
	v_cmpx_lt_i32_e64 v9, v17
	s_cbranch_execz .LBB0_136
; %bb.113:
	v_mul_lo_u32 v10, v4, s18
	s_mul_i32 s2, s18, s18
	v_cmp_gt_i32_e64 s0, s18, v0
	v_mul_lo_u32 v6, s2, v9
	s_cmp_lg_u32 s26, 0
	s_mov_b32 s5, 0
	s_cselect_b32 s8, -1, 0
	s_add_i32 s9, s18, 1
	v_mad_u64_u32 v[4:5], null, s18, v10, s[18:19]
	s_add_i32 s10, s18, -1
	v_add3_u32 v11, v6, s18, v0
	s_branch .LBB0_115
.LBB0_114:                              ;   in Loop: Header=BB0_115 Depth=1
	v_add_nc_u32_e32 v9, 1, v9
	v_add_nc_u32_e32 v11, s2, v11
	v_cmp_ge_i32_e32 vcc_lo, v9, v17
	s_or_b32 s5, vcc_lo, s5
	s_andn2_b32 exec_lo, exec_lo, s5
	s_cbranch_execz .LBB0_136
.LBB0_115:                              ; =>This Loop Header: Depth=1
                                        ;     Child Loop BB0_118 Depth 2
                                        ;       Child Loop BB0_121 Depth 3
                                        ;         Child Loop BB0_124 Depth 4
	s_andn2_b32 vcc_lo, exec_lo, s4
	s_cbranch_vccnz .LBB0_114
; %bb.116:                              ;   in Loop: Header=BB0_115 Depth=1
	v_mul_lo_u32 v12, v9, s18
	v_mov_b32_e32 v13, v11
	v_mov_b32_e32 v14, v4
	s_mov_b32 s14, 0
	s_mov_b32 s11, s10
	s_branch .LBB0_118
.LBB0_117:                              ;   in Loop: Header=BB0_118 Depth=2
	s_or_b32 exec_lo, exec_lo, s16
	v_add_nc_u32_e32 v14, s9, v14
	v_add_nc_u32_e32 v13, s18, v13
	s_add_i32 s11, s11, -1
	s_cmp_eq_u32 s15, s18
	s_mov_b32 s14, s15
	s_cbranch_scc1 .LBB0_114
.LBB0_118:                              ;   Parent Loop BB0_115 Depth=1
                                        ; =>  This Loop Header: Depth=2
                                        ;       Child Loop BB0_121 Depth 3
                                        ;         Child Loop BB0_124 Depth 4
	s_add_i32 s15, s14, 1
	s_and_saveexec_b32 s16, s0
	s_cbranch_execz .LBB0_117
; %bb.119:                              ;   in Loop: Header=BB0_118 Depth=2
	v_add_nc_u32_e32 v5, s14, v10
	v_add_nc_u32_e32 v6, s14, v12
	v_mov_b32_e32 v18, v13
	v_mov_b32_e32 v19, v0
	s_cmp_lt_i32 s15, s18
	v_mul_lo_u32 v15, v5, s18
	v_mul_lo_u32 v16, v6, s18
	s_cselect_b32 s17, -1, 0
	s_mov_b32 s22, 0
	s_branch .LBB0_121
.LBB0_120:                              ;   in Loop: Header=BB0_121 Depth=3
	v_add_nc_u32_e32 v19, 64, v19
	v_add_nc_u32_e32 v18, 64, v18
	v_cmp_le_i32_e32 vcc_lo, s18, v19
	s_or_b32 s22, vcc_lo, s22
	s_andn2_b32 exec_lo, exec_lo, s22
	s_cbranch_execz .LBB0_117
.LBB0_121:                              ;   Parent Loop BB0_115 Depth=1
                                        ;     Parent Loop BB0_118 Depth=2
                                        ; =>    This Loop Header: Depth=3
                                        ;         Child Loop BB0_124 Depth 4
	s_andn2_b32 vcc_lo, exec_lo, s17
	s_cbranch_vccnz .LBB0_120
; %bb.122:                              ;   in Loop: Header=BB0_121 Depth=3
	v_add_nc_u32_e32 v5, v19, v12
	v_add_nc_u32_e32 v22, v19, v16
	s_mov_b32 s23, 0
	s_mov_b32 s25, s11
	s_mov_b32 s26, s15
	v_mul_lo_u32 v20, v5, s18
	v_add_nc_u32_e32 v21, s14, v20
	s_branch .LBB0_124
.LBB0_123:                              ;   in Loop: Header=BB0_124 Depth=4
	v_ashrrev_i32_e32 v6, 31, v5
	s_waitcnt vmcnt(0)
	v_fma_f32 v7, -v8, v23, v7
	s_add_i32 s25, s25, -1
	s_add_i32 s26, s26, 1
	s_add_i32 s23, s23, s18
	v_lshlrev_b64 v[5:6], 2, v[5:6]
	s_cmp_eq_u32 s25, 0
	v_add_co_u32 v5, vcc_lo, s12, v5
	v_add_co_ci_u32_e64 v6, null, s13, v6, vcc_lo
	global_store_dword v[5:6], v7, off
	s_cbranch_scc1 .LBB0_120
.LBB0_124:                              ;   Parent Loop BB0_115 Depth=1
                                        ;     Parent Loop BB0_118 Depth=2
                                        ;       Parent Loop BB0_121 Depth=3
                                        ; =>      This Inner Loop Header: Depth=4
	s_and_b32 vcc_lo, exec_lo, s8
	s_cbranch_vccz .LBB0_132
; %bb.125:                              ;   in Loop: Header=BB0_124 Depth=4
	v_add_nc_u32_e32 v5, s26, v15
	v_mov_b32_e32 v7, v21
	s_cbranch_execnz .LBB0_127
.LBB0_126:                              ;   in Loop: Header=BB0_124 Depth=4
	v_add_nc_u32_e32 v5, s23, v14
	v_mov_b32_e32 v7, v22
.LBB0_127:                              ;   in Loop: Header=BB0_124 Depth=4
	v_ashrrev_i32_e32 v6, 31, v5
	v_ashrrev_i32_e32 v8, 31, v7
	v_lshlrev_b64 v[5:6], 2, v[5:6]
	v_lshlrev_b64 v[7:8], 2, v[7:8]
	v_add_co_u32 v5, vcc_lo, s12, v5
	v_add_co_ci_u32_e64 v6, null, s13, v6, vcc_lo
	v_add_co_u32 v23, vcc_lo, s12, v7
	v_add_co_ci_u32_e64 v24, null, s13, v8, vcc_lo
	s_clause 0x1
	global_load_dword v8, v[5:6], off
	global_load_dword v23, v[23:24], off
	v_add_nc_u32_e32 v5, s26, v20
	s_and_b32 vcc_lo, exec_lo, s8
	s_cbranch_vccz .LBB0_133
; %bb.128:                              ;   in Loop: Header=BB0_124 Depth=4
	v_add_nc_u32_e32 v6, s26, v20
	v_add_nc_u32_e32 v24, s23, v18
	s_cbranch_execnz .LBB0_130
.LBB0_129:                              ;   in Loop: Header=BB0_124 Depth=4
	v_add_nc_u32_e32 v6, s23, v18
.LBB0_130:                              ;   in Loop: Header=BB0_124 Depth=4
	v_ashrrev_i32_e32 v7, 31, v6
	v_lshlrev_b64 v[6:7], 2, v[6:7]
	v_add_co_u32 v6, vcc_lo, s12, v6
	v_add_co_ci_u32_e64 v7, null, s13, v7, vcc_lo
	s_and_b32 vcc_lo, exec_lo, s8
	global_load_dword v7, v[6:7], off
	s_cbranch_vccz .LBB0_134
; %bb.131:                              ;   in Loop: Header=BB0_124 Depth=4
	s_cbranch_execnz .LBB0_123
	s_branch .LBB0_135
.LBB0_132:                              ;   in Loop: Header=BB0_124 Depth=4
                                        ; implicit-def: $vgpr5
	v_mov_b32_e32 v7, v21
	s_branch .LBB0_126
.LBB0_133:                              ;   in Loop: Header=BB0_124 Depth=4
                                        ; implicit-def: $vgpr6
	v_add_nc_u32_e32 v24, s23, v18
	s_branch .LBB0_129
.LBB0_134:                              ;   in Loop: Header=BB0_124 Depth=4
                                        ; implicit-def: $vgpr5
.LBB0_135:                              ;   in Loop: Header=BB0_124 Depth=4
	v_mov_b32_e32 v5, v24
	s_branch .LBB0_123
.LBB0_136:
	s_or_b32 exec_lo, exec_lo, s1
	s_orn2_b32 s0, s3, exec_lo
.LBB0_137:
	s_or_b32 exec_lo, exec_lo, s19
	v_cmp_eq_u32_e32 vcc_lo, 0, v0
	s_and_b32 exec_lo, exec_lo, vcc_lo
	s_cbranch_execz .LBB0_143
; %bb.138:
	v_add_co_u32 v2, vcc_lo, s20, v2
	v_add_co_ci_u32_e64 v3, null, s21, v3, vcc_lo
	v_mov_b32_e32 v0, 1
	s_waitcnt_vscnt null, 0x0
	global_store_dword v[2:3], v0, off
	s_and_b32 exec_lo, exec_lo, s0
	s_cbranch_execz .LBB0_143
; %bb.139:
	v_add_nc_u32_e32 v0, s24, v1
	s_mov_b32 s1, exec_lo
	s_brev_b32 s0, -2
.LBB0_140:                              ; =>This Inner Loop Header: Depth=1
	s_ff1_i32_b32 s2, s1
	v_readlane_b32 s3, v0, s2
	s_lshl_b32 s2, 1, s2
	s_andn2_b32 s1, s1, s2
	s_min_i32 s0, s0, s3
	s_cmp_lg_u32 s1, 0
	s_cbranch_scc1 .LBB0_140
; %bb.141:
	v_mbcnt_lo_u32_b32 v0, exec_lo, 0
	s_mov_b32 s1, exec_lo
	v_cmpx_eq_u32_e32 0, v0
	s_xor_b32 s1, exec_lo, s1
	s_cbranch_execz .LBB0_143
; %bb.142:
	v_mov_b32_e32 v0, 0
	v_mov_b32_e32 v1, s0
	global_atomic_smin v0, v1, s[6:7]
.LBB0_143:
	s_endpgm
	.section	.rodata,"a",@progbits
	.p2align	6, 0x0
	.amdhsa_kernel _ZN9rocsparseL15bsrilu0_generalILj128ELj64ELb1EfEEv20rocsparse_direction_iPKiS3_PT2_S3_iPiS3_S6_21rocsparse_index_base_imNS_24const_host_device_scalarIfEENS8_IdEENS8_IS4_EEb
		.amdhsa_group_segment_fixed_size 0
		.amdhsa_private_segment_fixed_size 0
		.amdhsa_kernarg_size 116
		.amdhsa_user_sgpr_count 6
		.amdhsa_user_sgpr_private_segment_buffer 1
		.amdhsa_user_sgpr_dispatch_ptr 0
		.amdhsa_user_sgpr_queue_ptr 0
		.amdhsa_user_sgpr_kernarg_segment_ptr 1
		.amdhsa_user_sgpr_dispatch_id 0
		.amdhsa_user_sgpr_flat_scratch_init 0
		.amdhsa_user_sgpr_private_segment_size 0
		.amdhsa_wavefront_size32 1
		.amdhsa_uses_dynamic_stack 0
		.amdhsa_system_sgpr_private_segment_wavefront_offset 0
		.amdhsa_system_sgpr_workgroup_id_x 1
		.amdhsa_system_sgpr_workgroup_id_y 0
		.amdhsa_system_sgpr_workgroup_id_z 0
		.amdhsa_system_sgpr_workgroup_info 0
		.amdhsa_system_vgpr_workitem_id 0
		.amdhsa_next_free_vgpr 37
		.amdhsa_next_free_sgpr 44
		.amdhsa_reserve_vcc 1
		.amdhsa_reserve_flat_scratch 0
		.amdhsa_float_round_mode_32 0
		.amdhsa_float_round_mode_16_64 0
		.amdhsa_float_denorm_mode_32 3
		.amdhsa_float_denorm_mode_16_64 3
		.amdhsa_dx10_clamp 1
		.amdhsa_ieee_mode 1
		.amdhsa_fp16_overflow 0
		.amdhsa_workgroup_processor_mode 1
		.amdhsa_memory_ordered 1
		.amdhsa_forward_progress 1
		.amdhsa_shared_vgpr_count 0
		.amdhsa_exception_fp_ieee_invalid_op 0
		.amdhsa_exception_fp_denorm_src 0
		.amdhsa_exception_fp_ieee_div_zero 0
		.amdhsa_exception_fp_ieee_overflow 0
		.amdhsa_exception_fp_ieee_underflow 0
		.amdhsa_exception_fp_ieee_inexact 0
		.amdhsa_exception_int_div_zero 0
	.end_amdhsa_kernel
	.section	.text._ZN9rocsparseL15bsrilu0_generalILj128ELj64ELb1EfEEv20rocsparse_direction_iPKiS3_PT2_S3_iPiS3_S6_21rocsparse_index_base_imNS_24const_host_device_scalarIfEENS8_IdEENS8_IS4_EEb,"axG",@progbits,_ZN9rocsparseL15bsrilu0_generalILj128ELj64ELb1EfEEv20rocsparse_direction_iPKiS3_PT2_S3_iPiS3_S6_21rocsparse_index_base_imNS_24const_host_device_scalarIfEENS8_IdEENS8_IS4_EEb,comdat
.Lfunc_end0:
	.size	_ZN9rocsparseL15bsrilu0_generalILj128ELj64ELb1EfEEv20rocsparse_direction_iPKiS3_PT2_S3_iPiS3_S6_21rocsparse_index_base_imNS_24const_host_device_scalarIfEENS8_IdEENS8_IS4_EEb, .Lfunc_end0-_ZN9rocsparseL15bsrilu0_generalILj128ELj64ELb1EfEEv20rocsparse_direction_iPKiS3_PT2_S3_iPiS3_S6_21rocsparse_index_base_imNS_24const_host_device_scalarIfEENS8_IdEENS8_IS4_EEb
                                        ; -- End function
	.set _ZN9rocsparseL15bsrilu0_generalILj128ELj64ELb1EfEEv20rocsparse_direction_iPKiS3_PT2_S3_iPiS3_S6_21rocsparse_index_base_imNS_24const_host_device_scalarIfEENS8_IdEENS8_IS4_EEb.num_vgpr, 37
	.set _ZN9rocsparseL15bsrilu0_generalILj128ELj64ELb1EfEEv20rocsparse_direction_iPKiS3_PT2_S3_iPiS3_S6_21rocsparse_index_base_imNS_24const_host_device_scalarIfEENS8_IdEENS8_IS4_EEb.num_agpr, 0
	.set _ZN9rocsparseL15bsrilu0_generalILj128ELj64ELb1EfEEv20rocsparse_direction_iPKiS3_PT2_S3_iPiS3_S6_21rocsparse_index_base_imNS_24const_host_device_scalarIfEENS8_IdEENS8_IS4_EEb.numbered_sgpr, 44
	.set _ZN9rocsparseL15bsrilu0_generalILj128ELj64ELb1EfEEv20rocsparse_direction_iPKiS3_PT2_S3_iPiS3_S6_21rocsparse_index_base_imNS_24const_host_device_scalarIfEENS8_IdEENS8_IS4_EEb.num_named_barrier, 0
	.set _ZN9rocsparseL15bsrilu0_generalILj128ELj64ELb1EfEEv20rocsparse_direction_iPKiS3_PT2_S3_iPiS3_S6_21rocsparse_index_base_imNS_24const_host_device_scalarIfEENS8_IdEENS8_IS4_EEb.private_seg_size, 0
	.set _ZN9rocsparseL15bsrilu0_generalILj128ELj64ELb1EfEEv20rocsparse_direction_iPKiS3_PT2_S3_iPiS3_S6_21rocsparse_index_base_imNS_24const_host_device_scalarIfEENS8_IdEENS8_IS4_EEb.uses_vcc, 1
	.set _ZN9rocsparseL15bsrilu0_generalILj128ELj64ELb1EfEEv20rocsparse_direction_iPKiS3_PT2_S3_iPiS3_S6_21rocsparse_index_base_imNS_24const_host_device_scalarIfEENS8_IdEENS8_IS4_EEb.uses_flat_scratch, 0
	.set _ZN9rocsparseL15bsrilu0_generalILj128ELj64ELb1EfEEv20rocsparse_direction_iPKiS3_PT2_S3_iPiS3_S6_21rocsparse_index_base_imNS_24const_host_device_scalarIfEENS8_IdEENS8_IS4_EEb.has_dyn_sized_stack, 0
	.set _ZN9rocsparseL15bsrilu0_generalILj128ELj64ELb1EfEEv20rocsparse_direction_iPKiS3_PT2_S3_iPiS3_S6_21rocsparse_index_base_imNS_24const_host_device_scalarIfEENS8_IdEENS8_IS4_EEb.has_recursion, 0
	.set _ZN9rocsparseL15bsrilu0_generalILj128ELj64ELb1EfEEv20rocsparse_direction_iPKiS3_PT2_S3_iPiS3_S6_21rocsparse_index_base_imNS_24const_host_device_scalarIfEENS8_IdEENS8_IS4_EEb.has_indirect_call, 0
	.section	.AMDGPU.csdata,"",@progbits
; Kernel info:
; codeLenInByte = 4172
; TotalNumSgprs: 46
; NumVgprs: 37
; ScratchSize: 0
; MemoryBound: 0
; FloatMode: 240
; IeeeMode: 1
; LDSByteSize: 0 bytes/workgroup (compile time only)
; SGPRBlocks: 0
; VGPRBlocks: 4
; NumSGPRsForWavesPerEU: 46
; NumVGPRsForWavesPerEU: 37
; Occupancy: 16
; WaveLimiterHint : 1
; COMPUTE_PGM_RSRC2:SCRATCH_EN: 0
; COMPUTE_PGM_RSRC2:USER_SGPR: 6
; COMPUTE_PGM_RSRC2:TRAP_HANDLER: 0
; COMPUTE_PGM_RSRC2:TGID_X_EN: 1
; COMPUTE_PGM_RSRC2:TGID_Y_EN: 0
; COMPUTE_PGM_RSRC2:TGID_Z_EN: 0
; COMPUTE_PGM_RSRC2:TIDIG_COMP_CNT: 0
	.section	.text._ZN9rocsparseL15bsrilu0_generalILj128ELj32ELb0EfEEv20rocsparse_direction_iPKiS3_PT2_S3_iPiS3_S6_21rocsparse_index_base_imNS_24const_host_device_scalarIfEENS8_IdEENS8_IS4_EEb,"axG",@progbits,_ZN9rocsparseL15bsrilu0_generalILj128ELj32ELb0EfEEv20rocsparse_direction_iPKiS3_PT2_S3_iPiS3_S6_21rocsparse_index_base_imNS_24const_host_device_scalarIfEENS8_IdEENS8_IS4_EEb,comdat
	.globl	_ZN9rocsparseL15bsrilu0_generalILj128ELj32ELb0EfEEv20rocsparse_direction_iPKiS3_PT2_S3_iPiS3_S6_21rocsparse_index_base_imNS_24const_host_device_scalarIfEENS8_IdEENS8_IS4_EEb ; -- Begin function _ZN9rocsparseL15bsrilu0_generalILj128ELj32ELb0EfEEv20rocsparse_direction_iPKiS3_PT2_S3_iPiS3_S6_21rocsparse_index_base_imNS_24const_host_device_scalarIfEENS8_IdEENS8_IS4_EEb
	.p2align	8
	.type	_ZN9rocsparseL15bsrilu0_generalILj128ELj32ELb0EfEEv20rocsparse_direction_iPKiS3_PT2_S3_iPiS3_S6_21rocsparse_index_base_imNS_24const_host_device_scalarIfEENS8_IdEENS8_IS4_EEb,@function
_ZN9rocsparseL15bsrilu0_generalILj128ELj32ELb0EfEEv20rocsparse_direction_iPKiS3_PT2_S3_iPiS3_S6_21rocsparse_index_base_imNS_24const_host_device_scalarIfEENS8_IdEENS8_IS4_EEb: ; @_ZN9rocsparseL15bsrilu0_generalILj128ELj32ELb0EfEEv20rocsparse_direction_iPKiS3_PT2_S3_iPiS3_S6_21rocsparse_index_base_imNS_24const_host_device_scalarIfEENS8_IdEENS8_IS4_EEb
; %bb.0:
	s_clause 0x2
	s_load_dword s0, s[4:5], 0x70
	s_load_dwordx2 s[24:25], s[4:5], 0x48
	s_load_dwordx8 s[16:23], s[4:5], 0x50
	s_waitcnt lgkmcnt(0)
	s_bitcmp1_b32 s0, 0
	s_cselect_b32 s0, -1, 0
	s_cmp_eq_u32 s25, 0
	s_cselect_b32 s2, -1, 0
	s_cmp_lg_u32 s25, 0
	s_cselect_b32 s25, -1, 0
	s_or_b32 s7, s2, s0
	s_xor_b32 s3, s7, -1
	s_and_b32 s0, s2, exec_lo
	s_cselect_b32 s1, 0, s21
	s_cselect_b32 s0, 0, s20
	s_and_b32 vcc_lo, exec_lo, s7
	s_cbranch_vccnz .LBB1_2
; %bb.1:
	s_load_dword s0, s[18:19], 0x0
	s_waitcnt lgkmcnt(0)
	v_mov_b32_e32 v19, s0
	s_mov_b64 s[0:1], s[20:21]
	s_branch .LBB1_3
.LBB1_2:
	v_cndmask_b32_e64 v19, s18, 0, s2
.LBB1_3:
	v_mov_b32_e32 v7, s1
	v_cndmask_b32_e64 v1, 0, 1, s3
	v_mov_b32_e32 v6, s0
	s_andn2_b32 vcc_lo, exec_lo, s3
	s_cbranch_vccnz .LBB1_5
; %bb.4:
	v_mov_b32_e32 v2, s20
	v_mov_b32_e32 v3, s21
	flat_load_dwordx2 v[6:7], v[2:3]
.LBB1_5:
	v_cmp_ne_u32_e32 vcc_lo, 1, v1
	s_cbranch_vccnz .LBB1_7
; %bb.6:
	s_load_dword s0, s[22:23], 0x0
	s_waitcnt lgkmcnt(0)
	v_mov_b32_e32 v18, s0
	s_branch .LBB1_8
.LBB1_7:
	v_cndmask_b32_e64 v18, s22, 0, s2
.LBB1_8:
	s_load_dwordx2 s[26:27], s[4:5], 0x0
	v_lshrrev_b32_e32 v1, 5, v0
	s_lshl_b32 s0, s6, 2
	v_and_or_b32 v1, 0x7fffffc, s0, v1
	s_mov_b32 s0, exec_lo
	s_waitcnt lgkmcnt(0)
	v_cmpx_gt_i32_e64 s27, v1
	s_cbranch_execz .LBB1_141
; %bb.9:
	s_clause 0x1
	s_load_dwordx4 s[20:23], s[4:5], 0x30
	s_load_dwordx2 s[6:7], s[4:5], 0x40
	v_lshlrev_b32_e32 v1, 2, v1
	s_load_dwordx8 s[8:15], s[4:5], 0x8
	v_and_b32_e32 v0, 31, v0
	s_mov_b32 s0, -1
	s_mov_b32 s19, exec_lo
	s_waitcnt lgkmcnt(0)
	global_load_dword v1, v1, s[22:23]
	s_waitcnt vmcnt(0)
	v_ashrrev_i32_e32 v2, 31, v1
	v_lshlrev_b64 v[2:3], 2, v[1:2]
	v_add_co_u32 v4, vcc_lo, s14, v2
	v_add_co_ci_u32_e64 v5, null, s15, v3, vcc_lo
	global_load_dword v4, v[4:5], off
	s_waitcnt vmcnt(0)
	v_cmpx_ne_u32_e32 -1, v4
	s_cbranch_execz .LBB1_135
; %bb.10:
	v_add_co_u32 v8, vcc_lo, s8, v2
	v_add_co_ci_u32_e64 v9, null, s9, v3, vcc_lo
	s_load_dword s18, s[4:5], 0x28
	s_mov_b32 s3, 0
	s_mov_b32 s5, exec_lo
	global_load_dwordx2 v[8:9], v[8:9], off
	s_waitcnt vmcnt(0)
	v_subrev_nc_u32_e32 v8, s24, v8
	v_subrev_nc_u32_e32 v17, s24, v9
	v_cmpx_lt_i32_e64 v8, v4
	s_cbranch_execz .LBB1_76
; %bb.11:
	v_add_nc_u32_e32 v10, v8, v0
	s_waitcnt lgkmcnt(0)
	v_mad_u64_u32 v[12:13], null, s18, v8, v[0:1]
	s_cmp_gt_i32 s18, 0
	v_cmp_gt_i32_e64 s0, s18, v0
	v_ashrrev_i32_e32 v11, 31, v10
	v_cmp_le_i32_e64 s1, s18, v0
	v_cmp_lt_i32_e64 s2, v10, v17
	s_cselect_b32 s22, -1, 0
	v_mul_lo_u32 v20, s18, v12
	v_lshlrev_b64 v[13:14], 2, v[10:11]
	s_cmp_lg_u32 s26, 0
	s_mov_b32 s28, 0
	s_cselect_b32 s23, -1, 0
	s_add_i32 s27, s27, 1
	s_mul_i32 s29, s18, s18
	v_add_co_u32 v11, vcc_lo, s10, v13
	v_add_co_ci_u32_e64 v12, null, s11, v14, vcc_lo
	v_add_nc_u32_e32 v21, 1, v20
	s_add_i32 s30, s18, 1
	s_lshl_b32 s31, s18, 5
	s_add_i32 s33, s18, -1
	s_mov_b32 s34, 0
                                        ; implicit-def: $sgpr35
                                        ; implicit-def: $sgpr36
	s_branch .LBB1_14
.LBB1_12:                               ;   in Loop: Header=BB1_14 Depth=1
	s_or_b32 exec_lo, exec_lo, s4
	s_andn2_b32 s4, s36, exec_lo
	s_and_b32 s28, s28, exec_lo
	s_or_b32 s36, s4, s28
.LBB1_13:                               ;   in Loop: Header=BB1_14 Depth=1
	s_or_b32 exec_lo, exec_lo, s37
	v_add_nc_u32_e32 v8, 1, v8
	s_xor_b32 s3, s3, -1
	v_add_nc_u32_e32 v21, s29, v21
	v_add_nc_u32_e32 v20, s29, v20
	s_mov_b32 s28, s36
	v_cmp_ge_i32_e32 vcc_lo, v8, v4
	s_or_b32 s3, s3, vcc_lo
	s_and_b32 s3, exec_lo, s3
	s_or_b32 s34, s3, s34
	s_andn2_b32 s3, s35, exec_lo
	s_and_b32 s4, s36, exec_lo
	s_or_b32 s35, s3, s4
	s_andn2_b32 exec_lo, exec_lo, s34
	s_cbranch_execz .LBB1_75
.LBB1_14:                               ; =>This Loop Header: Depth=1
                                        ;     Child Loop BB1_17 Depth 2
                                        ;     Child Loop BB1_22 Depth 2
                                        ;       Child Loop BB1_27 Depth 3
                                        ;         Child Loop BB1_36 Depth 4
                                        ;     Child Loop BB1_49 Depth 2
                                        ;       Child Loop BB1_54 Depth 3
                                        ;       Child Loop BB1_61 Depth 3
                                        ;         Child Loop BB1_63 Depth 4
                                        ;           Child Loop BB1_65 Depth 5
	v_ashrrev_i32_e32 v9, 31, v8
	s_or_b32 s36, s36, exec_lo
	v_lshlrev_b64 v[13:14], 2, v[8:9]
	v_add_co_u32 v13, vcc_lo, s10, v13
	v_add_co_ci_u32_e64 v14, null, s11, v14, vcc_lo
	s_waitcnt lgkmcnt(0)
	global_load_dword v5, v[13:14], off
	s_waitcnt vmcnt(0)
	v_subrev_nc_u32_e32 v13, s24, v5
	v_ashrrev_i32_e32 v14, 31, v13
	v_lshlrev_b64 v[13:14], 2, v[13:14]
	v_add_co_u32 v15, vcc_lo, s14, v13
	v_add_co_ci_u32_e64 v16, null, s15, v14, vcc_lo
	global_load_dword v23, v[15:16], off
	s_waitcnt vmcnt(0)
	v_cmp_ne_u32_e64 s3, -1, v23
	s_and_saveexec_b32 s37, s3
	s_cbranch_execz .LBB1_13
; %bb.15:                               ;   in Loop: Header=BB1_14 Depth=1
	v_add_co_u32 v15, vcc_lo, s8, v13
	v_add_co_ci_u32_e64 v16, null, s9, v14, vcc_lo
	v_add_co_u32 v13, vcc_lo, s20, v13
	v_add_co_ci_u32_e64 v14, null, s21, v14, vcc_lo
	global_load_dword v24, v[15:16], off offset:4
	global_load_dword v5, v[13:14], off glc dlc
	s_mov_b32 s4, exec_lo
	s_waitcnt vmcnt(0)
	v_cmpx_eq_u32_e32 0, v5
	s_cbranch_execz .LBB1_18
; %bb.16:                               ;   in Loop: Header=BB1_14 Depth=1
	s_mov_b32 s38, 0
.LBB1_17:                               ;   Parent Loop BB1_14 Depth=1
                                        ; =>  This Inner Loop Header: Depth=2
	global_load_dword v5, v[13:14], off glc dlc
	s_waitcnt vmcnt(0)
	v_cmp_ne_u32_e32 vcc_lo, 0, v5
	s_or_b32 s38, vcc_lo, s38
	s_andn2_b32 exec_lo, exec_lo, s38
	s_cbranch_execnz .LBB1_17
.LBB1_18:                               ;   in Loop: Header=BB1_14 Depth=1
	s_or_b32 exec_lo, exec_lo, s4
	v_mul_lo_u32 v22, v8, s18
	s_andn2_b32 vcc_lo, exec_lo, s22
	buffer_gl1_inv
	buffer_gl0_inv
	s_cbranch_vccnz .LBB1_45
; %bb.19:                               ;   in Loop: Header=BB1_14 Depth=1
	v_mul_lo_u32 v25, v23, s18
	v_mad_u64_u32 v[13:14], null, s29, v23, 1
	v_mov_b32_e32 v5, 0
	v_mov_b32_e32 v26, v21
	s_mov_b32 s38, 0
	s_mov_b32 s39, s33
	s_branch .LBB1_22
.LBB1_20:                               ;   in Loop: Header=BB1_22 Depth=2
	s_or_b32 exec_lo, exec_lo, s41
	v_mov_b32_e32 v5, v27
.LBB1_21:                               ;   in Loop: Header=BB1_22 Depth=2
	s_or_b32 exec_lo, exec_lo, s40
	v_cmp_eq_u32_e32 vcc_lo, s18, v5
	v_add_nc_u32_e32 v13, s30, v13
	v_add_nc_u32_e32 v26, 1, v26
	s_add_i32 s39, s39, -1
	s_or_b32 s38, vcc_lo, s38
	s_andn2_b32 exec_lo, exec_lo, s38
	s_cbranch_execz .LBB1_44
.LBB1_22:                               ;   Parent Loop BB1_14 Depth=1
                                        ; =>  This Loop Header: Depth=2
                                        ;       Child Loop BB1_27 Depth 3
                                        ;         Child Loop BB1_36 Depth 4
	v_add_nc_u32_e32 v27, 1, v5
	s_and_saveexec_b32 s4, s1
	s_xor_b32 s4, exec_lo, s4
; %bb.23:                               ;   in Loop: Header=BB1_22 Depth=2
	v_add_nc_u32_e32 v5, 1, v5
                                        ; implicit-def: $vgpr27
; %bb.24:                               ;   in Loop: Header=BB1_22 Depth=2
	s_andn2_saveexec_b32 s40, s4
	s_cbranch_execz .LBB1_21
; %bb.25:                               ;   in Loop: Header=BB1_22 Depth=2
	v_add_nc_u32_e32 v9, v5, v25
	v_cmp_gt_i32_e64 s4, s18, v27
	v_mov_b32_e32 v30, v26
	s_mov_b32 s41, 0
	v_mad_u64_u32 v[14:15], null, v9, s18, v[5:6]
	v_add_nc_u32_e32 v9, v5, v22
	v_mul_lo_u32 v29, v9, s18
	v_ashrrev_i32_e32 v15, 31, v14
	v_mov_b32_e32 v9, v0
	v_lshlrev_b64 v[14:15], 2, v[14:15]
	v_add_co_u32 v14, vcc_lo, s12, v14
	v_add_co_ci_u32_e64 v15, null, s13, v15, vcc_lo
	global_load_dword v28, v[14:15], off
	s_branch .LBB1_27
.LBB1_26:                               ;   in Loop: Header=BB1_27 Depth=3
	s_or_b32 exec_lo, exec_lo, s42
	v_add_nc_u32_e32 v9, 32, v9
	v_add_nc_u32_e32 v30, s31, v30
	v_cmp_le_i32_e32 vcc_lo, s18, v9
	s_or_b32 s41, vcc_lo, s41
	s_andn2_b32 exec_lo, exec_lo, s41
	s_cbranch_execz .LBB1_20
.LBB1_27:                               ;   Parent Loop BB1_14 Depth=1
                                        ;     Parent Loop BB1_22 Depth=2
                                        ; =>    This Loop Header: Depth=3
                                        ;         Child Loop BB1_36 Depth 4
	v_add_nc_u32_e32 v14, v9, v29
	s_and_b32 vcc_lo, exec_lo, s23
	s_cbranch_vccz .LBB1_42
; %bb.28:                               ;   in Loop: Header=BB1_27 Depth=3
	v_add_nc_u32_e32 v15, v9, v29
	v_add_nc_u32_e32 v31, v9, v22
	s_cbranch_execnz .LBB1_30
.LBB1_29:                               ;   in Loop: Header=BB1_27 Depth=3
	v_mad_u64_u32 v[15:16], null, v31, s18, v[5:6]
.LBB1_30:                               ;   in Loop: Header=BB1_27 Depth=3
	v_ashrrev_i32_e32 v16, 31, v15
	v_lshlrev_b64 v[15:16], 2, v[15:16]
	v_add_co_u32 v15, vcc_lo, s12, v15
	v_add_co_ci_u32_e64 v16, null, s13, v16, vcc_lo
	s_and_b32 vcc_lo, exec_lo, s23
	global_load_dword v16, v[15:16], off
	s_cbranch_vccz .LBB1_43
; %bb.31:                               ;   in Loop: Header=BB1_27 Depth=3
	s_cbranch_execnz .LBB1_33
.LBB1_32:                               ;   in Loop: Header=BB1_27 Depth=3
	v_mad_u64_u32 v[14:15], null, v31, s18, v[5:6]
.LBB1_33:                               ;   in Loop: Header=BB1_27 Depth=3
	s_waitcnt vmcnt(0)
	v_div_scale_f32 v15, null, v28, v28, v16
	v_div_scale_f32 v33, vcc_lo, v16, v28, v16
	v_rcp_f32_e32 v31, v15
	v_fma_f32 v32, -v15, v31, 1.0
	v_fmac_f32_e32 v31, v32, v31
	v_mul_f32_e32 v32, v33, v31
	v_fma_f32 v34, -v15, v32, v33
	v_fmac_f32_e32 v32, v34, v31
	v_fma_f32 v33, -v15, v32, v33
	v_ashrrev_i32_e32 v15, 31, v14
	v_div_fmas_f32 v31, v33, v31, v32
	v_lshlrev_b64 v[14:15], 2, v[14:15]
	v_div_fixup_f32 v16, v31, v28, v16
	v_add_co_u32 v14, vcc_lo, s12, v14
	v_add_co_ci_u32_e64 v15, null, s13, v15, vcc_lo
	global_store_dword v[14:15], v16, off
	s_and_saveexec_b32 s42, s4
	s_cbranch_execz .LBB1_26
; %bb.34:                               ;   in Loop: Header=BB1_27 Depth=3
	v_mov_b32_e32 v31, v30
	v_mov_b32_e32 v32, v13
	;; [unrolled: 1-line block ×3, first 2 shown]
	s_mov_b32 s43, s39
	s_branch .LBB1_36
.LBB1_35:                               ;   in Loop: Header=BB1_36 Depth=4
	v_ashrrev_i32_e32 v15, 31, v14
	s_waitcnt vmcnt(0)
	v_fma_f32 v34, -v16, v34, v36
	v_add_nc_u32_e32 v33, 1, v33
	v_add_nc_u32_e32 v32, 1, v32
	v_add_nc_u32_e32 v31, 1, v31
	v_lshlrev_b64 v[14:15], 2, v[14:15]
	s_add_i32 s43, s43, -1
	s_cmp_eq_u32 s43, 0
	v_add_co_u32 v14, vcc_lo, s12, v14
	v_add_co_ci_u32_e64 v15, null, s13, v15, vcc_lo
	global_store_dword v[14:15], v34, off
	s_cbranch_scc1 .LBB1_26
.LBB1_36:                               ;   Parent Loop BB1_14 Depth=1
                                        ;     Parent Loop BB1_22 Depth=2
                                        ;       Parent Loop BB1_27 Depth=3
                                        ; =>      This Inner Loop Header: Depth=4
	v_mov_b32_e32 v14, v32
	s_andn2_b32 vcc_lo, exec_lo, s23
	s_cbranch_vccnz .LBB1_38
; %bb.37:                               ;   in Loop: Header=BB1_36 Depth=4
	v_add_nc_u32_e32 v14, v33, v25
	v_mad_u64_u32 v[14:15], null, v14, s18, v[5:6]
.LBB1_38:                               ;   in Loop: Header=BB1_36 Depth=4
	v_ashrrev_i32_e32 v15, 31, v14
	v_add_nc_u32_e32 v35, v33, v22
	v_lshlrev_b64 v[14:15], 2, v[14:15]
	v_add_co_u32 v14, vcc_lo, s12, v14
	v_add_co_ci_u32_e64 v15, null, s13, v15, vcc_lo
	s_andn2_b32 vcc_lo, exec_lo, s23
	global_load_dword v34, v[14:15], off
	v_mov_b32_e32 v14, v31
	s_cbranch_vccnz .LBB1_40
; %bb.39:                               ;   in Loop: Header=BB1_36 Depth=4
	v_mad_u64_u32 v[14:15], null, v35, s18, v[9:10]
.LBB1_40:                               ;   in Loop: Header=BB1_36 Depth=4
	v_ashrrev_i32_e32 v15, 31, v14
	v_lshlrev_b64 v[14:15], 2, v[14:15]
	v_add_co_u32 v14, vcc_lo, s12, v14
	v_add_co_ci_u32_e64 v15, null, s13, v15, vcc_lo
	s_andn2_b32 vcc_lo, exec_lo, s23
	global_load_dword v36, v[14:15], off
	v_mov_b32_e32 v14, v31
	s_cbranch_vccnz .LBB1_35
; %bb.41:                               ;   in Loop: Header=BB1_36 Depth=4
	v_mad_u64_u32 v[14:15], null, v35, s18, v[9:10]
	s_branch .LBB1_35
.LBB1_42:                               ;   in Loop: Header=BB1_27 Depth=3
                                        ; implicit-def: $vgpr15
	v_add_nc_u32_e32 v31, v9, v22
	s_branch .LBB1_29
.LBB1_43:                               ;   in Loop: Header=BB1_27 Depth=3
                                        ; implicit-def: $vgpr14
	s_branch .LBB1_32
.LBB1_44:                               ;   in Loop: Header=BB1_14 Depth=1
	s_or_b32 exec_lo, exec_lo, s38
.LBB1_45:                               ;   in Loop: Header=BB1_14 Depth=1
	v_subrev_nc_u32_e32 v9, s24, v24
	v_add_nc_u32_e32 v13, 1, v23
	s_mov_b32 s4, exec_lo
	v_cmpx_lt_i32_e64 v13, v9
	s_cbranch_execz .LBB1_12
; %bb.46:                               ;   in Loop: Header=BB1_14 Depth=1
	v_mul_lo_u32 v16, s29, v13
	s_mov_b32 s38, 0
	s_branch .LBB1_49
.LBB1_47:                               ;   in Loop: Header=BB1_49 Depth=2
	s_or_b32 exec_lo, exec_lo, s39
.LBB1_48:                               ;   in Loop: Header=BB1_49 Depth=2
	v_add_nc_u32_e32 v13, 1, v13
	v_add_nc_u32_e32 v16, s29, v16
	v_cmp_ge_i32_e32 vcc_lo, v13, v9
	s_or_b32 s38, vcc_lo, s38
	s_andn2_b32 exec_lo, exec_lo, s38
	s_cbranch_execz .LBB1_12
.LBB1_49:                               ;   Parent Loop BB1_14 Depth=1
                                        ; =>  This Loop Header: Depth=2
                                        ;       Child Loop BB1_54 Depth 3
                                        ;       Child Loop BB1_61 Depth 3
                                        ;         Child Loop BB1_63 Depth 4
                                        ;           Child Loop BB1_65 Depth 5
	v_ashrrev_i32_e32 v14, 31, v13
	v_lshlrev_b64 v[14:15], 2, v[13:14]
	v_add_co_u32 v14, vcc_lo, s10, v14
	v_add_co_ci_u32_e64 v15, null, s11, v15, vcc_lo
	s_waitcnt lgkmcnt(0)
	global_load_dword v5, v[14:15], off
	v_mov_b32_e32 v15, s27
	s_and_saveexec_b32 s39, s2
	s_cbranch_execz .LBB1_51
; %bb.50:                               ;   in Loop: Header=BB1_49 Depth=2
	global_load_dword v14, v[11:12], off
	s_waitcnt vmcnt(0)
	v_subrev_nc_u32_e32 v15, s24, v14
.LBB1_51:                               ;   in Loop: Header=BB1_49 Depth=2
	s_or_b32 exec_lo, exec_lo, s39
	s_waitcnt vmcnt(0)
	v_subrev_nc_u32_e32 v5, s24, v5
	v_mov_b32_e32 v23, v10
	s_mov_b32 s39, exec_lo
	v_cmpx_lt_i32_e64 v15, v5
	s_cbranch_execz .LBB1_57
; %bb.52:                               ;   in Loop: Header=BB1_49 Depth=2
	v_mov_b32_e32 v14, v10
	s_mov_b32 s40, 0
	s_branch .LBB1_54
	.p2align	6
.LBB1_53:                               ;   in Loop: Header=BB1_54 Depth=3
	s_or_b32 exec_lo, exec_lo, s41
	v_cmp_ge_i32_e32 vcc_lo, v15, v5
	v_mov_b32_e32 v14, v23
	s_or_b32 s40, vcc_lo, s40
	s_andn2_b32 exec_lo, exec_lo, s40
	s_cbranch_execz .LBB1_56
.LBB1_54:                               ;   Parent Loop BB1_14 Depth=1
                                        ;     Parent Loop BB1_49 Depth=2
                                        ; =>    This Inner Loop Header: Depth=3
	v_add_nc_u32_e32 v23, 32, v14
	v_mov_b32_e32 v15, s27
	s_mov_b32 s41, exec_lo
	v_cmpx_lt_i32_e64 v23, v17
	s_cbranch_execz .LBB1_53
; %bb.55:                               ;   in Loop: Header=BB1_54 Depth=3
	v_ashrrev_i32_e32 v15, 31, v14
	v_lshlrev_b64 v[14:15], 2, v[14:15]
	v_add_co_u32 v14, vcc_lo, s10, v14
	v_add_co_ci_u32_e64 v15, null, s11, v15, vcc_lo
	global_load_dword v14, v[14:15], off offset:128
	s_waitcnt vmcnt(0)
	v_subrev_nc_u32_e32 v15, s24, v14
	s_branch .LBB1_53
.LBB1_56:                               ;   in Loop: Header=BB1_49 Depth=2
	s_or_b32 exec_lo, exec_lo, s40
.LBB1_57:                               ;   in Loop: Header=BB1_49 Depth=2
	s_or_b32 exec_lo, exec_lo, s39
	v_cmp_eq_u32_e32 vcc_lo, v15, v5
	s_cbranch_vccz .LBB1_48
; %bb.58:                               ;   in Loop: Header=BB1_49 Depth=2
	s_ff1_i32_b32 s39, vcc_lo
	s_lshl_b32 s39, s39, 2
	v_mov_b32_e32 v5, s39
	ds_bpermute_b32 v5, v5, v23
	s_and_saveexec_b32 s39, s0
	s_cbranch_execz .LBB1_47
; %bb.59:                               ;   in Loop: Header=BB1_49 Depth=2
	v_mul_lo_u32 v23, v13, s18
	s_waitcnt lgkmcnt(0)
	v_mul_lo_u32 v24, v5, s18
	v_mov_b32_e32 v25, v20
	v_mov_b32_e32 v5, v0
	s_mov_b32 s40, 0
	s_branch .LBB1_61
.LBB1_60:                               ;   in Loop: Header=BB1_61 Depth=3
	v_add_nc_u32_e32 v5, 32, v5
	v_add_nc_u32_e32 v25, s31, v25
	v_cmp_le_i32_e32 vcc_lo, s18, v5
	s_or_b32 s40, vcc_lo, s40
	s_andn2_b32 exec_lo, exec_lo, s40
	s_cbranch_execz .LBB1_47
.LBB1_61:                               ;   Parent Loop BB1_14 Depth=1
                                        ;     Parent Loop BB1_49 Depth=2
                                        ; =>    This Loop Header: Depth=3
                                        ;         Child Loop BB1_63 Depth 4
                                        ;           Child Loop BB1_65 Depth 5
	v_add_nc_u32_e32 v14, v5, v24
	v_mov_b32_e32 v27, v16
	s_mov_b32 s41, 0
	v_mul_lo_u32 v26, v14, s18
	s_branch .LBB1_63
.LBB1_62:                               ;   in Loop: Header=BB1_63 Depth=4
	v_ashrrev_i32_e32 v15, 31, v14
	v_add_nc_u32_e32 v27, 1, v27
	s_add_i32 s41, s41, 1
	s_cmp_eq_u32 s41, s18
	v_lshlrev_b64 v[14:15], 2, v[14:15]
	v_add_co_u32 v14, vcc_lo, s12, v14
	v_add_co_ci_u32_e64 v15, null, s13, v15, vcc_lo
	global_load_dword v29, v[14:15], off
	s_waitcnt vmcnt(0)
	v_sub_f32_e32 v28, v29, v28
	global_store_dword v[14:15], v28, off
	s_cbranch_scc1 .LBB1_60
.LBB1_63:                               ;   Parent Loop BB1_14 Depth=1
                                        ;     Parent Loop BB1_49 Depth=2
                                        ;       Parent Loop BB1_61 Depth=3
                                        ; =>      This Loop Header: Depth=4
                                        ;           Child Loop BB1_65 Depth 5
	v_add_nc_u32_e32 v14, s41, v23
	v_mov_b32_e32 v28, 0
	v_mov_b32_e32 v30, v27
	s_mov_b32 s42, 0
	v_mul_lo_u32 v29, v14, s18
	s_inst_prefetch 0x1
	s_branch .LBB1_65
	.p2align	6
.LBB1_64:                               ;   in Loop: Header=BB1_65 Depth=5
	v_ashrrev_i32_e32 v15, 31, v14
	v_add_nc_u32_e32 v30, s18, v30
	s_add_i32 s42, s42, 1
	s_cmp_eq_u32 s18, s42
	v_lshlrev_b64 v[14:15], 2, v[14:15]
	v_add_co_u32 v14, vcc_lo, s12, v14
	v_add_co_ci_u32_e64 v15, null, s13, v15, vcc_lo
	global_load_dword v14, v[14:15], off
	s_waitcnt vmcnt(0)
	v_fmac_f32_e32 v28, v31, v14
	s_cbranch_scc1 .LBB1_71
.LBB1_65:                               ;   Parent Loop BB1_14 Depth=1
                                        ;     Parent Loop BB1_49 Depth=2
                                        ;       Parent Loop BB1_61 Depth=3
                                        ;         Parent Loop BB1_63 Depth=4
                                        ; =>        This Inner Loop Header: Depth=5
	s_and_b32 vcc_lo, exec_lo, s23
	s_cbranch_vccz .LBB1_70
; %bb.66:                               ;   in Loop: Header=BB1_65 Depth=5
	v_add_nc_u32_e32 v14, s42, v22
	v_mad_u64_u32 v[14:15], null, v14, s18, v[5:6]
	s_cbranch_execnz .LBB1_68
.LBB1_67:                               ;   in Loop: Header=BB1_65 Depth=5
	v_add_nc_u32_e32 v14, s42, v25
.LBB1_68:                               ;   in Loop: Header=BB1_65 Depth=5
	v_ashrrev_i32_e32 v15, 31, v14
	v_lshlrev_b64 v[14:15], 2, v[14:15]
	v_add_co_u32 v14, vcc_lo, s12, v14
	v_add_co_ci_u32_e64 v15, null, s13, v15, vcc_lo
	s_andn2_b32 vcc_lo, exec_lo, s23
	global_load_dword v31, v[14:15], off
	v_mov_b32_e32 v14, v30
	s_cbranch_vccnz .LBB1_64
; %bb.69:                               ;   in Loop: Header=BB1_65 Depth=5
	v_add_nc_u32_e32 v14, s42, v29
	s_branch .LBB1_64
.LBB1_70:                               ;   in Loop: Header=BB1_65 Depth=5
                                        ; implicit-def: $vgpr14
	s_branch .LBB1_67
.LBB1_71:                               ;   in Loop: Header=BB1_63 Depth=4
	s_inst_prefetch 0x2
	s_and_b32 vcc_lo, exec_lo, s23
	s_cbranch_vccz .LBB1_73
; %bb.72:                               ;   in Loop: Header=BB1_63 Depth=4
	v_add_nc_u32_e32 v14, s41, v24
	v_mad_u64_u32 v[14:15], null, v14, s18, v[5:6]
	s_cbranch_execnz .LBB1_62
	s_branch .LBB1_74
.LBB1_73:                               ;   in Loop: Header=BB1_63 Depth=4
                                        ; implicit-def: $vgpr14
.LBB1_74:                               ;   in Loop: Header=BB1_63 Depth=4
	v_add_nc_u32_e32 v14, s41, v26
	s_branch .LBB1_62
.LBB1_75:
	s_or_b32 exec_lo, exec_lo, s34
	s_and_b32 s3, s35, exec_lo
.LBB1_76:
	s_or_b32 exec_lo, exec_lo, s5
	s_waitcnt lgkmcnt(0)
	v_ashrrev_i32_e32 v5, 31, v4
	s_cmp_gt_i32 s18, 0
	s_mov_b32 s8, 0
	s_cselect_b32 s4, -1, 0
	v_lshlrev_b64 v[8:9], 2, v[4:5]
	v_add_co_u32 v8, vcc_lo, s10, v8
	v_add_co_ci_u32_e64 v9, null, s11, v9, vcc_lo
	global_load_dword v5, v[8:9], off
	s_waitcnt vmcnt(0)
	v_subrev_nc_u32_e32 v5, s24, v5
	v_cmp_eq_u32_e32 vcc_lo, v5, v1
	s_and_b32 s0, s4, vcc_lo
	s_and_saveexec_b32 s5, s0
	s_cbranch_execz .LBB1_110
; %bb.77:
	v_cvt_f64_f32_e32 v[11:12], v19
	v_mul_lo_u32 v14, v4, s18
	s_cmp_eq_u64 s[16:17], 8
	s_mul_i32 s1, s18, s18
	s_cselect_b32 vcc_lo, -1, 0
	s_cmp_lg_u32 s26, 0
	v_mad_u64_u32 v[8:9], null, v4, s1, 1
	s_cselect_b32 s9, -1, 0
	v_add_nc_u32_e32 v10, v14, v0
	s_add_i32 s2, s18, 1
	v_cmp_eq_u32_e64 s0, 0, v0
	v_mov_b32_e32 v5, 0
	s_lshl_b32 s10, s18, 5
	v_mad_u64_u32 v[9:10], null, s18, v10, s[2:3]
	s_add_i32 s11, s18, -1
	s_mov_b32 s15, s3
                                        ; implicit-def: $sgpr14
	v_cndmask_b32_e32 v7, v12, v7, vcc_lo
	v_cndmask_b32_e32 v6, v11, v6, vcc_lo
	s_branch .LBB1_79
.LBB1_78:                               ;   in Loop: Header=BB1_79 Depth=1
	s_or_b32 exec_lo, exec_lo, s1
	v_cmp_eq_u32_e32 vcc_lo, s18, v19
	s_add_i32 s11, s11, -1
	v_add_nc_u32_e32 v8, s2, v8
	v_add_nc_u32_e32 v9, s2, v9
	v_mov_b32_e32 v5, v19
	s_or_b32 s8, vcc_lo, s8
	s_andn2_b32 s1, s14, exec_lo
	s_and_b32 s14, s15, exec_lo
	s_or_b32 s14, s1, s14
	s_andn2_b32 exec_lo, exec_lo, s8
	s_cbranch_execz .LBB1_109
.LBB1_79:                               ; =>This Loop Header: Depth=1
                                        ;     Child Loop BB1_89 Depth 2
                                        ;       Child Loop BB1_98 Depth 3
	v_add_nc_u32_e32 v10, v5, v14
	s_mov_b32 s16, 0
	s_mov_b32 s1, 0
	s_mov_b32 s17, -1
                                        ; implicit-def: $vgpr12
	v_mul_lo_u32 v15, v10, s18
	v_add_nc_u32_e32 v10, v15, v5
	v_ashrrev_i32_e32 v11, 31, v10
	v_lshlrev_b64 v[10:11], 2, v[10:11]
	v_add_co_u32 v10, vcc_lo, s12, v10
	v_add_co_ci_u32_e64 v11, null, s13, v11, vcc_lo
	s_andn2_b32 vcc_lo, exec_lo, s25
	global_load_dword v16, v[10:11], off
	s_cbranch_vccnz .LBB1_83
; %bb.80:                               ;   in Loop: Header=BB1_79 Depth=1
	s_waitcnt vmcnt(0)
	v_cmp_gt_f32_e32 vcc_lo, 0, v16
	v_cndmask_b32_e64 v12, v16, -v16, vcc_lo
	v_cvt_f64_f32_e32 v[12:13], v12
	v_cmp_ge_f64_e32 vcc_lo, v[6:7], v[12:13]
	v_cndmask_b32_e32 v12, v16, v18, vcc_lo
	s_and_saveexec_b32 s1, s0
	s_cbranch_execz .LBB1_82
; %bb.81:                               ;   in Loop: Header=BB1_79 Depth=1
	global_store_dword v[10:11], v12, off
.LBB1_82:                               ;   in Loop: Header=BB1_79 Depth=1
	s_or_b32 exec_lo, exec_lo, s1
	s_mov_b32 s17, 0
	s_mov_b32 s1, -1
.LBB1_83:                               ;   in Loop: Header=BB1_79 Depth=1
	s_andn2_b32 vcc_lo, exec_lo, s17
	s_cbranch_vccnz .LBB1_85
; %bb.84:                               ;   in Loop: Header=BB1_79 Depth=1
	s_waitcnt vmcnt(0)
	v_cmp_neq_f32_e32 vcc_lo, 0, v16
	s_andn2_b32 s1, s1, exec_lo
	s_mov_b32 s16, -1
	s_and_b32 s17, vcc_lo, exec_lo
	s_or_b32 s1, s1, s17
                                        ; implicit-def: $vgpr19
	s_and_saveexec_b32 s17, s1
	s_xor_b32 s17, exec_lo, s17
	s_cbranch_execnz .LBB1_86
	s_branch .LBB1_107
.LBB1_85:                               ;   in Loop: Header=BB1_79 Depth=1
	s_waitcnt vmcnt(0)
	v_mov_b32_e32 v16, v12
                                        ; implicit-def: $vgpr19
	s_and_saveexec_b32 s17, s1
	s_xor_b32 s17, exec_lo, s17
	s_cbranch_execz .LBB1_107
.LBB1_86:                               ;   in Loop: Header=BB1_79 Depth=1
	v_add_nc_u32_e32 v19, 1, v5
	s_mov_b32 s22, exec_lo
	v_add_nc_u32_e32 v10, v19, v0
	v_cmpx_gt_i32_e64 s18, v10
	s_cbranch_execz .LBB1_106
; %bb.87:                               ;   in Loop: Header=BB1_79 Depth=1
	v_cmp_gt_i32_e64 s1, s18, v19
	v_mov_b32_e32 v20, v9
	s_mov_b32 s23, 0
	s_branch .LBB1_89
.LBB1_88:                               ;   in Loop: Header=BB1_89 Depth=2
	s_or_b32 exec_lo, exec_lo, s27
	v_add_nc_u32_e32 v10, 32, v10
	v_add_nc_u32_e32 v20, s10, v20
	v_cmp_le_i32_e32 vcc_lo, s18, v10
	s_or_b32 s23, vcc_lo, s23
	s_andn2_b32 exec_lo, exec_lo, s23
	s_cbranch_execz .LBB1_106
.LBB1_89:                               ;   Parent Loop BB1_79 Depth=1
                                        ; =>  This Loop Header: Depth=2
                                        ;       Child Loop BB1_98 Depth 3
	v_add_nc_u32_e32 v11, v10, v15
	s_and_b32 vcc_lo, exec_lo, s9
	s_cbranch_vccz .LBB1_104
; %bb.90:                               ;   in Loop: Header=BB1_89 Depth=2
	v_add_nc_u32_e32 v12, v10, v15
	s_cbranch_execnz .LBB1_92
.LBB1_91:                               ;   in Loop: Header=BB1_89 Depth=2
	v_add_nc_u32_e32 v12, v10, v14
	v_mad_u64_u32 v[12:13], null, v12, s18, v[5:6]
.LBB1_92:                               ;   in Loop: Header=BB1_89 Depth=2
	v_ashrrev_i32_e32 v13, 31, v12
	v_lshlrev_b64 v[12:13], 2, v[12:13]
	v_add_co_u32 v12, vcc_lo, s12, v12
	v_add_co_ci_u32_e64 v13, null, s13, v13, vcc_lo
	s_and_b32 vcc_lo, exec_lo, s9
	global_load_dword v13, v[12:13], off
	s_cbranch_vccz .LBB1_105
; %bb.93:                               ;   in Loop: Header=BB1_89 Depth=2
	s_cbranch_execnz .LBB1_95
.LBB1_94:                               ;   in Loop: Header=BB1_89 Depth=2
	v_add_nc_u32_e32 v11, v10, v14
	v_mad_u64_u32 v[11:12], null, v11, s18, v[5:6]
.LBB1_95:                               ;   in Loop: Header=BB1_89 Depth=2
	s_waitcnt vmcnt(0)
	v_div_scale_f32 v12, null, v16, v16, v13
	v_div_scale_f32 v23, vcc_lo, v13, v16, v13
	v_rcp_f32_e32 v21, v12
	v_fma_f32 v22, -v12, v21, 1.0
	v_fmac_f32_e32 v21, v22, v21
	v_mul_f32_e32 v22, v23, v21
	v_fma_f32 v24, -v12, v22, v23
	v_fmac_f32_e32 v22, v24, v21
	v_fma_f32 v23, -v12, v22, v23
	v_ashrrev_i32_e32 v12, 31, v11
	v_div_fmas_f32 v21, v23, v21, v22
	v_lshlrev_b64 v[11:12], 2, v[11:12]
	v_div_fixup_f32 v13, v21, v16, v13
	v_add_co_u32 v11, vcc_lo, s12, v11
	v_add_co_ci_u32_e64 v12, null, s13, v12, vcc_lo
	global_store_dword v[11:12], v13, off
	s_and_saveexec_b32 s27, s1
	s_cbranch_execz .LBB1_88
; %bb.96:                               ;   in Loop: Header=BB1_89 Depth=2
	v_mov_b32_e32 v21, v20
	v_mov_b32_e32 v22, v8
	;; [unrolled: 1-line block ×3, first 2 shown]
	s_mov_b32 s28, s11
	s_branch .LBB1_98
.LBB1_97:                               ;   in Loop: Header=BB1_98 Depth=3
	v_ashrrev_i32_e32 v12, 31, v11
	s_waitcnt vmcnt(0)
	v_fma_f32 v24, -v13, v25, v26
	v_add_nc_u32_e32 v23, 1, v23
	v_add_nc_u32_e32 v22, 1, v22
	;; [unrolled: 1-line block ×3, first 2 shown]
	v_lshlrev_b64 v[11:12], 2, v[11:12]
	s_add_i32 s28, s28, -1
	s_cmp_eq_u32 s28, 0
	v_add_co_u32 v11, vcc_lo, s12, v11
	v_add_co_ci_u32_e64 v12, null, s13, v12, vcc_lo
	global_store_dword v[11:12], v24, off
	s_cbranch_scc1 .LBB1_88
.LBB1_98:                               ;   Parent Loop BB1_79 Depth=1
                                        ;     Parent Loop BB1_89 Depth=2
                                        ; =>    This Inner Loop Header: Depth=3
	v_add_nc_u32_e32 v24, v23, v14
	v_mov_b32_e32 v11, v22
	s_andn2_b32 vcc_lo, exec_lo, s9
	s_cbranch_vccnz .LBB1_100
; %bb.99:                               ;   in Loop: Header=BB1_98 Depth=3
	v_mad_u64_u32 v[11:12], null, v24, s18, v[5:6]
.LBB1_100:                              ;   in Loop: Header=BB1_98 Depth=3
	v_ashrrev_i32_e32 v12, 31, v11
	v_lshlrev_b64 v[11:12], 2, v[11:12]
	v_add_co_u32 v11, vcc_lo, s12, v11
	v_add_co_ci_u32_e64 v12, null, s13, v12, vcc_lo
	s_andn2_b32 vcc_lo, exec_lo, s9
	global_load_dword v25, v[11:12], off
	v_mov_b32_e32 v11, v21
	s_cbranch_vccnz .LBB1_102
; %bb.101:                              ;   in Loop: Header=BB1_98 Depth=3
	v_mad_u64_u32 v[11:12], null, v24, s18, v[10:11]
.LBB1_102:                              ;   in Loop: Header=BB1_98 Depth=3
	v_ashrrev_i32_e32 v12, 31, v11
	v_lshlrev_b64 v[11:12], 2, v[11:12]
	v_add_co_u32 v11, vcc_lo, s12, v11
	v_add_co_ci_u32_e64 v12, null, s13, v12, vcc_lo
	s_andn2_b32 vcc_lo, exec_lo, s9
	global_load_dword v26, v[11:12], off
	v_mov_b32_e32 v11, v21
	s_cbranch_vccnz .LBB1_97
; %bb.103:                              ;   in Loop: Header=BB1_98 Depth=3
	v_mad_u64_u32 v[11:12], null, v24, s18, v[10:11]
	s_branch .LBB1_97
.LBB1_104:                              ;   in Loop: Header=BB1_89 Depth=2
                                        ; implicit-def: $vgpr12
	s_branch .LBB1_91
.LBB1_105:                              ;   in Loop: Header=BB1_89 Depth=2
                                        ; implicit-def: $vgpr11
	s_branch .LBB1_94
.LBB1_106:                              ;   in Loop: Header=BB1_79 Depth=1
	s_or_b32 exec_lo, exec_lo, s22
	s_andn2_b32 s16, s16, exec_lo
.LBB1_107:                              ;   in Loop: Header=BB1_79 Depth=1
	s_or_b32 exec_lo, exec_lo, s17
	s_andn2_b32 s1, s15, exec_lo
	s_and_b32 s15, s15, exec_lo
	s_or_b32 s15, s1, s15
	s_and_saveexec_b32 s1, s16
	s_cbranch_execz .LBB1_78
; %bb.108:                              ;   in Loop: Header=BB1_79 Depth=1
	v_add_nc_u32_e32 v19, 1, v5
	s_or_b32 s15, s15, exec_lo
	s_branch .LBB1_78
.LBB1_109:
	s_or_b32 exec_lo, exec_lo, s8
	s_andn2_b32 s0, s3, exec_lo
	s_and_b32 s1, s14, exec_lo
	s_or_b32 s3, s0, s1
.LBB1_110:
	s_or_b32 exec_lo, exec_lo, s5
	v_add_nc_u32_e32 v9, 1, v4
	s_mov_b32 s1, exec_lo
	v_cmpx_lt_i32_e64 v9, v17
	s_cbranch_execz .LBB1_134
; %bb.111:
	v_mul_lo_u32 v10, v4, s18
	s_mul_i32 s2, s18, s18
	v_cmp_gt_i32_e64 s0, s18, v0
	v_mul_lo_u32 v6, s2, v9
	s_cmp_lg_u32 s26, 0
	s_mov_b32 s5, 0
	s_cselect_b32 s8, -1, 0
	s_add_i32 s9, s18, 1
	v_mad_u64_u32 v[4:5], null, s18, v10, s[18:19]
	s_add_i32 s10, s18, -1
	v_add3_u32 v11, v6, s18, v0
	s_branch .LBB1_113
.LBB1_112:                              ;   in Loop: Header=BB1_113 Depth=1
	v_add_nc_u32_e32 v9, 1, v9
	v_add_nc_u32_e32 v11, s2, v11
	v_cmp_ge_i32_e32 vcc_lo, v9, v17
	s_or_b32 s5, vcc_lo, s5
	s_andn2_b32 exec_lo, exec_lo, s5
	s_cbranch_execz .LBB1_134
.LBB1_113:                              ; =>This Loop Header: Depth=1
                                        ;     Child Loop BB1_116 Depth 2
                                        ;       Child Loop BB1_119 Depth 3
                                        ;         Child Loop BB1_122 Depth 4
	s_andn2_b32 vcc_lo, exec_lo, s4
	s_cbranch_vccnz .LBB1_112
; %bb.114:                              ;   in Loop: Header=BB1_113 Depth=1
	v_mul_lo_u32 v12, v9, s18
	v_mov_b32_e32 v13, v11
	v_mov_b32_e32 v14, v4
	s_mov_b32 s14, 0
	s_mov_b32 s11, s10
	s_branch .LBB1_116
.LBB1_115:                              ;   in Loop: Header=BB1_116 Depth=2
	s_or_b32 exec_lo, exec_lo, s16
	v_add_nc_u32_e32 v14, s9, v14
	v_add_nc_u32_e32 v13, s18, v13
	s_add_i32 s11, s11, -1
	s_cmp_eq_u32 s15, s18
	s_mov_b32 s14, s15
	s_cbranch_scc1 .LBB1_112
.LBB1_116:                              ;   Parent Loop BB1_113 Depth=1
                                        ; =>  This Loop Header: Depth=2
                                        ;       Child Loop BB1_119 Depth 3
                                        ;         Child Loop BB1_122 Depth 4
	s_add_i32 s15, s14, 1
	s_and_saveexec_b32 s16, s0
	s_cbranch_execz .LBB1_115
; %bb.117:                              ;   in Loop: Header=BB1_116 Depth=2
	v_add_nc_u32_e32 v5, s14, v10
	v_add_nc_u32_e32 v6, s14, v12
	v_mov_b32_e32 v18, v13
	v_mov_b32_e32 v19, v0
	s_cmp_lt_i32 s15, s18
	v_mul_lo_u32 v15, v5, s18
	v_mul_lo_u32 v16, v6, s18
	s_cselect_b32 s17, -1, 0
	s_mov_b32 s22, 0
	s_branch .LBB1_119
.LBB1_118:                              ;   in Loop: Header=BB1_119 Depth=3
	v_add_nc_u32_e32 v19, 32, v19
	v_add_nc_u32_e32 v18, 32, v18
	v_cmp_le_i32_e32 vcc_lo, s18, v19
	s_or_b32 s22, vcc_lo, s22
	s_andn2_b32 exec_lo, exec_lo, s22
	s_cbranch_execz .LBB1_115
.LBB1_119:                              ;   Parent Loop BB1_113 Depth=1
                                        ;     Parent Loop BB1_116 Depth=2
                                        ; =>    This Loop Header: Depth=3
                                        ;         Child Loop BB1_122 Depth 4
	s_andn2_b32 vcc_lo, exec_lo, s17
	s_cbranch_vccnz .LBB1_118
; %bb.120:                              ;   in Loop: Header=BB1_119 Depth=3
	v_add_nc_u32_e32 v5, v19, v12
	v_add_nc_u32_e32 v22, v19, v16
	s_mov_b32 s23, 0
	s_mov_b32 s25, s11
	;; [unrolled: 1-line block ×3, first 2 shown]
	v_mul_lo_u32 v20, v5, s18
	v_add_nc_u32_e32 v21, s14, v20
	s_branch .LBB1_122
.LBB1_121:                              ;   in Loop: Header=BB1_122 Depth=4
	v_ashrrev_i32_e32 v6, 31, v5
	s_waitcnt vmcnt(0)
	v_fma_f32 v7, -v8, v23, v7
	s_add_i32 s25, s25, -1
	s_add_i32 s26, s26, 1
	s_add_i32 s23, s23, s18
	v_lshlrev_b64 v[5:6], 2, v[5:6]
	s_cmp_eq_u32 s25, 0
	v_add_co_u32 v5, vcc_lo, s12, v5
	v_add_co_ci_u32_e64 v6, null, s13, v6, vcc_lo
	global_store_dword v[5:6], v7, off
	s_cbranch_scc1 .LBB1_118
.LBB1_122:                              ;   Parent Loop BB1_113 Depth=1
                                        ;     Parent Loop BB1_116 Depth=2
                                        ;       Parent Loop BB1_119 Depth=3
                                        ; =>      This Inner Loop Header: Depth=4
	s_and_b32 vcc_lo, exec_lo, s8
	s_cbranch_vccz .LBB1_130
; %bb.123:                              ;   in Loop: Header=BB1_122 Depth=4
	v_add_nc_u32_e32 v5, s26, v15
	v_mov_b32_e32 v7, v21
	s_cbranch_execnz .LBB1_125
.LBB1_124:                              ;   in Loop: Header=BB1_122 Depth=4
	v_add_nc_u32_e32 v5, s23, v14
	v_mov_b32_e32 v7, v22
.LBB1_125:                              ;   in Loop: Header=BB1_122 Depth=4
	v_ashrrev_i32_e32 v6, 31, v5
	v_ashrrev_i32_e32 v8, 31, v7
	v_lshlrev_b64 v[5:6], 2, v[5:6]
	v_lshlrev_b64 v[7:8], 2, v[7:8]
	v_add_co_u32 v5, vcc_lo, s12, v5
	v_add_co_ci_u32_e64 v6, null, s13, v6, vcc_lo
	v_add_co_u32 v23, vcc_lo, s12, v7
	v_add_co_ci_u32_e64 v24, null, s13, v8, vcc_lo
	s_clause 0x1
	global_load_dword v8, v[5:6], off
	global_load_dword v23, v[23:24], off
	v_add_nc_u32_e32 v5, s26, v20
	s_and_b32 vcc_lo, exec_lo, s8
	s_cbranch_vccz .LBB1_131
; %bb.126:                              ;   in Loop: Header=BB1_122 Depth=4
	v_add_nc_u32_e32 v6, s26, v20
	v_add_nc_u32_e32 v24, s23, v18
	s_cbranch_execnz .LBB1_128
.LBB1_127:                              ;   in Loop: Header=BB1_122 Depth=4
	v_add_nc_u32_e32 v6, s23, v18
.LBB1_128:                              ;   in Loop: Header=BB1_122 Depth=4
	v_ashrrev_i32_e32 v7, 31, v6
	v_lshlrev_b64 v[6:7], 2, v[6:7]
	v_add_co_u32 v6, vcc_lo, s12, v6
	v_add_co_ci_u32_e64 v7, null, s13, v7, vcc_lo
	s_and_b32 vcc_lo, exec_lo, s8
	global_load_dword v7, v[6:7], off
	s_cbranch_vccz .LBB1_132
; %bb.129:                              ;   in Loop: Header=BB1_122 Depth=4
	s_cbranch_execnz .LBB1_121
	s_branch .LBB1_133
.LBB1_130:                              ;   in Loop: Header=BB1_122 Depth=4
                                        ; implicit-def: $vgpr5
	v_mov_b32_e32 v7, v21
	s_branch .LBB1_124
.LBB1_131:                              ;   in Loop: Header=BB1_122 Depth=4
                                        ; implicit-def: $vgpr6
	v_add_nc_u32_e32 v24, s23, v18
	s_branch .LBB1_127
.LBB1_132:                              ;   in Loop: Header=BB1_122 Depth=4
                                        ; implicit-def: $vgpr5
.LBB1_133:                              ;   in Loop: Header=BB1_122 Depth=4
	v_mov_b32_e32 v5, v24
	s_branch .LBB1_121
.LBB1_134:
	s_or_b32 exec_lo, exec_lo, s1
	s_orn2_b32 s0, s3, exec_lo
.LBB1_135:
	s_or_b32 exec_lo, exec_lo, s19
	v_cmp_eq_u32_e32 vcc_lo, 0, v0
	s_and_b32 exec_lo, exec_lo, vcc_lo
	s_cbranch_execz .LBB1_141
; %bb.136:
	v_add_co_u32 v2, vcc_lo, s20, v2
	v_add_co_ci_u32_e64 v3, null, s21, v3, vcc_lo
	v_mov_b32_e32 v0, 1
	s_waitcnt_vscnt null, 0x0
	global_store_dword v[2:3], v0, off
	s_and_b32 exec_lo, exec_lo, s0
	s_cbranch_execz .LBB1_141
; %bb.137:
	v_add_nc_u32_e32 v0, s24, v1
	s_mov_b32 s1, exec_lo
	s_brev_b32 s0, -2
.LBB1_138:                              ; =>This Inner Loop Header: Depth=1
	s_ff1_i32_b32 s2, s1
	v_readlane_b32 s3, v0, s2
	s_lshl_b32 s2, 1, s2
	s_andn2_b32 s1, s1, s2
	s_min_i32 s0, s0, s3
	s_cmp_lg_u32 s1, 0
	s_cbranch_scc1 .LBB1_138
; %bb.139:
	v_mbcnt_lo_u32_b32 v0, exec_lo, 0
	s_mov_b32 s1, exec_lo
	v_cmpx_eq_u32_e32 0, v0
	s_xor_b32 s1, exec_lo, s1
	s_cbranch_execz .LBB1_141
; %bb.140:
	v_mov_b32_e32 v0, 0
	v_mov_b32_e32 v1, s0
	global_atomic_smin v0, v1, s[6:7]
.LBB1_141:
	s_endpgm
	.section	.rodata,"a",@progbits
	.p2align	6, 0x0
	.amdhsa_kernel _ZN9rocsparseL15bsrilu0_generalILj128ELj32ELb0EfEEv20rocsparse_direction_iPKiS3_PT2_S3_iPiS3_S6_21rocsparse_index_base_imNS_24const_host_device_scalarIfEENS8_IdEENS8_IS4_EEb
		.amdhsa_group_segment_fixed_size 0
		.amdhsa_private_segment_fixed_size 0
		.amdhsa_kernarg_size 116
		.amdhsa_user_sgpr_count 6
		.amdhsa_user_sgpr_private_segment_buffer 1
		.amdhsa_user_sgpr_dispatch_ptr 0
		.amdhsa_user_sgpr_queue_ptr 0
		.amdhsa_user_sgpr_kernarg_segment_ptr 1
		.amdhsa_user_sgpr_dispatch_id 0
		.amdhsa_user_sgpr_flat_scratch_init 0
		.amdhsa_user_sgpr_private_segment_size 0
		.amdhsa_wavefront_size32 1
		.amdhsa_uses_dynamic_stack 0
		.amdhsa_system_sgpr_private_segment_wavefront_offset 0
		.amdhsa_system_sgpr_workgroup_id_x 1
		.amdhsa_system_sgpr_workgroup_id_y 0
		.amdhsa_system_sgpr_workgroup_id_z 0
		.amdhsa_system_sgpr_workgroup_info 0
		.amdhsa_system_vgpr_workitem_id 0
		.amdhsa_next_free_vgpr 37
		.amdhsa_next_free_sgpr 44
		.amdhsa_reserve_vcc 1
		.amdhsa_reserve_flat_scratch 0
		.amdhsa_float_round_mode_32 0
		.amdhsa_float_round_mode_16_64 0
		.amdhsa_float_denorm_mode_32 3
		.amdhsa_float_denorm_mode_16_64 3
		.amdhsa_dx10_clamp 1
		.amdhsa_ieee_mode 1
		.amdhsa_fp16_overflow 0
		.amdhsa_workgroup_processor_mode 1
		.amdhsa_memory_ordered 1
		.amdhsa_forward_progress 1
		.amdhsa_shared_vgpr_count 0
		.amdhsa_exception_fp_ieee_invalid_op 0
		.amdhsa_exception_fp_denorm_src 0
		.amdhsa_exception_fp_ieee_div_zero 0
		.amdhsa_exception_fp_ieee_overflow 0
		.amdhsa_exception_fp_ieee_underflow 0
		.amdhsa_exception_fp_ieee_inexact 0
		.amdhsa_exception_int_div_zero 0
	.end_amdhsa_kernel
	.section	.text._ZN9rocsparseL15bsrilu0_generalILj128ELj32ELb0EfEEv20rocsparse_direction_iPKiS3_PT2_S3_iPiS3_S6_21rocsparse_index_base_imNS_24const_host_device_scalarIfEENS8_IdEENS8_IS4_EEb,"axG",@progbits,_ZN9rocsparseL15bsrilu0_generalILj128ELj32ELb0EfEEv20rocsparse_direction_iPKiS3_PT2_S3_iPiS3_S6_21rocsparse_index_base_imNS_24const_host_device_scalarIfEENS8_IdEENS8_IS4_EEb,comdat
.Lfunc_end1:
	.size	_ZN9rocsparseL15bsrilu0_generalILj128ELj32ELb0EfEEv20rocsparse_direction_iPKiS3_PT2_S3_iPiS3_S6_21rocsparse_index_base_imNS_24const_host_device_scalarIfEENS8_IdEENS8_IS4_EEb, .Lfunc_end1-_ZN9rocsparseL15bsrilu0_generalILj128ELj32ELb0EfEEv20rocsparse_direction_iPKiS3_PT2_S3_iPiS3_S6_21rocsparse_index_base_imNS_24const_host_device_scalarIfEENS8_IdEENS8_IS4_EEb
                                        ; -- End function
	.set _ZN9rocsparseL15bsrilu0_generalILj128ELj32ELb0EfEEv20rocsparse_direction_iPKiS3_PT2_S3_iPiS3_S6_21rocsparse_index_base_imNS_24const_host_device_scalarIfEENS8_IdEENS8_IS4_EEb.num_vgpr, 37
	.set _ZN9rocsparseL15bsrilu0_generalILj128ELj32ELb0EfEEv20rocsparse_direction_iPKiS3_PT2_S3_iPiS3_S6_21rocsparse_index_base_imNS_24const_host_device_scalarIfEENS8_IdEENS8_IS4_EEb.num_agpr, 0
	.set _ZN9rocsparseL15bsrilu0_generalILj128ELj32ELb0EfEEv20rocsparse_direction_iPKiS3_PT2_S3_iPiS3_S6_21rocsparse_index_base_imNS_24const_host_device_scalarIfEENS8_IdEENS8_IS4_EEb.numbered_sgpr, 44
	.set _ZN9rocsparseL15bsrilu0_generalILj128ELj32ELb0EfEEv20rocsparse_direction_iPKiS3_PT2_S3_iPiS3_S6_21rocsparse_index_base_imNS_24const_host_device_scalarIfEENS8_IdEENS8_IS4_EEb.num_named_barrier, 0
	.set _ZN9rocsparseL15bsrilu0_generalILj128ELj32ELb0EfEEv20rocsparse_direction_iPKiS3_PT2_S3_iPiS3_S6_21rocsparse_index_base_imNS_24const_host_device_scalarIfEENS8_IdEENS8_IS4_EEb.private_seg_size, 0
	.set _ZN9rocsparseL15bsrilu0_generalILj128ELj32ELb0EfEEv20rocsparse_direction_iPKiS3_PT2_S3_iPiS3_S6_21rocsparse_index_base_imNS_24const_host_device_scalarIfEENS8_IdEENS8_IS4_EEb.uses_vcc, 1
	.set _ZN9rocsparseL15bsrilu0_generalILj128ELj32ELb0EfEEv20rocsparse_direction_iPKiS3_PT2_S3_iPiS3_S6_21rocsparse_index_base_imNS_24const_host_device_scalarIfEENS8_IdEENS8_IS4_EEb.uses_flat_scratch, 0
	.set _ZN9rocsparseL15bsrilu0_generalILj128ELj32ELb0EfEEv20rocsparse_direction_iPKiS3_PT2_S3_iPiS3_S6_21rocsparse_index_base_imNS_24const_host_device_scalarIfEENS8_IdEENS8_IS4_EEb.has_dyn_sized_stack, 0
	.set _ZN9rocsparseL15bsrilu0_generalILj128ELj32ELb0EfEEv20rocsparse_direction_iPKiS3_PT2_S3_iPiS3_S6_21rocsparse_index_base_imNS_24const_host_device_scalarIfEENS8_IdEENS8_IS4_EEb.has_recursion, 0
	.set _ZN9rocsparseL15bsrilu0_generalILj128ELj32ELb0EfEEv20rocsparse_direction_iPKiS3_PT2_S3_iPiS3_S6_21rocsparse_index_base_imNS_24const_host_device_scalarIfEENS8_IdEENS8_IS4_EEb.has_indirect_call, 0
	.section	.AMDGPU.csdata,"",@progbits
; Kernel info:
; codeLenInByte = 4044
; TotalNumSgprs: 46
; NumVgprs: 37
; ScratchSize: 0
; MemoryBound: 0
; FloatMode: 240
; IeeeMode: 1
; LDSByteSize: 0 bytes/workgroup (compile time only)
; SGPRBlocks: 0
; VGPRBlocks: 4
; NumSGPRsForWavesPerEU: 46
; NumVGPRsForWavesPerEU: 37
; Occupancy: 16
; WaveLimiterHint : 1
; COMPUTE_PGM_RSRC2:SCRATCH_EN: 0
; COMPUTE_PGM_RSRC2:USER_SGPR: 6
; COMPUTE_PGM_RSRC2:TRAP_HANDLER: 0
; COMPUTE_PGM_RSRC2:TGID_X_EN: 1
; COMPUTE_PGM_RSRC2:TGID_Y_EN: 0
; COMPUTE_PGM_RSRC2:TGID_Z_EN: 0
; COMPUTE_PGM_RSRC2:TIDIG_COMP_CNT: 0
	.section	.text._ZN9rocsparseL11bsrilu0_2_8ILj64ELj64ELj8EfEEv20rocsparse_direction_iPKiS3_PT2_S3_iPiS3_S6_21rocsparse_index_base_imNS_24const_host_device_scalarIfEENS8_IdEENS8_IS4_EEb,"axG",@progbits,_ZN9rocsparseL11bsrilu0_2_8ILj64ELj64ELj8EfEEv20rocsparse_direction_iPKiS3_PT2_S3_iPiS3_S6_21rocsparse_index_base_imNS_24const_host_device_scalarIfEENS8_IdEENS8_IS4_EEb,comdat
	.globl	_ZN9rocsparseL11bsrilu0_2_8ILj64ELj64ELj8EfEEv20rocsparse_direction_iPKiS3_PT2_S3_iPiS3_S6_21rocsparse_index_base_imNS_24const_host_device_scalarIfEENS8_IdEENS8_IS4_EEb ; -- Begin function _ZN9rocsparseL11bsrilu0_2_8ILj64ELj64ELj8EfEEv20rocsparse_direction_iPKiS3_PT2_S3_iPiS3_S6_21rocsparse_index_base_imNS_24const_host_device_scalarIfEENS8_IdEENS8_IS4_EEb
	.p2align	8
	.type	_ZN9rocsparseL11bsrilu0_2_8ILj64ELj64ELj8EfEEv20rocsparse_direction_iPKiS3_PT2_S3_iPiS3_S6_21rocsparse_index_base_imNS_24const_host_device_scalarIfEENS8_IdEENS8_IS4_EEb,@function
_ZN9rocsparseL11bsrilu0_2_8ILj64ELj64ELj8EfEEv20rocsparse_direction_iPKiS3_PT2_S3_iPiS3_S6_21rocsparse_index_base_imNS_24const_host_device_scalarIfEENS8_IdEENS8_IS4_EEb: ; @_ZN9rocsparseL11bsrilu0_2_8ILj64ELj64ELj8EfEEv20rocsparse_direction_iPKiS3_PT2_S3_iPiS3_S6_21rocsparse_index_base_imNS_24const_host_device_scalarIfEENS8_IdEENS8_IS4_EEb
; %bb.0:
	s_clause 0x2
	s_load_dword s0, s[4:5], 0x70
	s_load_dwordx2 s[24:25], s[4:5], 0x48
	s_load_dwordx8 s[16:23], s[4:5], 0x50
	s_waitcnt lgkmcnt(0)
	s_bitcmp1_b32 s0, 0
	s_cselect_b32 s0, -1, 0
	s_cmp_eq_u32 s25, 0
	s_cselect_b32 s2, -1, 0
	s_cmp_lg_u32 s25, 0
	s_cselect_b32 s36, -1, 0
	s_or_b32 s7, s2, s0
	s_xor_b32 s3, s7, -1
	s_and_b32 s0, s2, exec_lo
	s_cselect_b32 s1, 0, s21
	s_cselect_b32 s0, 0, s20
	s_and_b32 vcc_lo, exec_lo, s7
	s_cbranch_vccnz .LBB2_2
; %bb.1:
	s_load_dword s0, s[18:19], 0x0
	s_waitcnt lgkmcnt(0)
	v_mov_b32_e32 v16, s0
	s_mov_b64 s[0:1], s[20:21]
	s_branch .LBB2_3
.LBB2_2:
	v_cndmask_b32_e64 v16, s18, 0, s2
.LBB2_3:
	v_mov_b32_e32 v3, s1
	v_cndmask_b32_e64 v4, 0, 1, s3
	v_mov_b32_e32 v2, s0
	s_andn2_b32 vcc_lo, exec_lo, s3
	s_cbranch_vccnz .LBB2_5
; %bb.4:
	v_mov_b32_e32 v2, s20
	v_mov_b32_e32 v3, s21
	flat_load_dwordx2 v[2:3], v[2:3]
.LBB2_5:
	v_cmp_ne_u32_e32 vcc_lo, 1, v4
	s_mov_b32 s7, 0
	s_cbranch_vccnz .LBB2_7
; %bb.6:
	s_load_dword s0, s[22:23], 0x0
	s_waitcnt lgkmcnt(0)
	v_mov_b32_e32 v15, s0
	s_branch .LBB2_8
.LBB2_7:
	v_cndmask_b32_e64 v15, s22, 0, s2
.LBB2_8:
	s_load_dwordx4 s[20:23], s[4:5], 0x30
	s_lshl_b64 s[0:1], s[6:7], 2
	s_load_dwordx2 s[6:7], s[4:5], 0x40
	s_waitcnt lgkmcnt(0)
	s_add_u32 s0, s22, s0
	s_addc_u32 s1, s23, s1
	s_load_dword s18, s[0:1], 0x0
	s_load_dwordx8 s[8:15], s[4:5], 0x8
	s_waitcnt lgkmcnt(0)
	s_ashr_i32 s19, s18, 31
	s_lshl_b64 s[22:23], s[18:19], 2
	s_add_u32 s0, s14, s22
	s_addc_u32 s1, s15, s23
	s_load_dword s26, s[0:1], 0x0
	s_waitcnt lgkmcnt(0)
	s_cmp_eq_u32 s26, -1
	s_cbranch_scc1 .LBB2_82
; %bb.9:
	s_add_u32 s0, s8, s22
	s_addc_u32 s1, s9, s23
	s_load_dword s19, s[4:5], 0x28
	s_load_dwordx2 s[2:3], s[0:1], 0x0
	s_load_dwordx2 s[28:29], s[4:5], 0x0
	v_max_u32_e32 v12, v0, v1
	v_mul_u32_u24_e32 v13, 36, v1
	v_lshlrev_b32_e32 v14, 2, v0
	v_add_nc_u32_e32 v11, 1, v1
	s_mov_b32 s33, 0
	s_waitcnt lgkmcnt(0)
	v_cmp_gt_u32_e64 s0, s19, v12
	s_sub_i32 s30, s2, s24
	s_sub_i32 s25, s3, s24
	s_cmp_ge_i32 s30, s26
	s_cbranch_scc1 .LBB2_60
; %bb.10:
	s_cmp_eq_u32 s28, 0
	v_add_nc_u32_e32 v17, 0x120, v14
	s_cselect_b32 vcc_lo, -1, 0
	s_cmp_gt_i32 s19, 0
	v_mad_u32_u24 v18, v1, 36, v14
	s_cselect_b32 s27, -1, 0
	s_add_u32 s4, s4, 0x78
	s_addc_u32 s5, s5, 0
	s_add_i32 s29, s29, 1
	s_cmp_lg_u32 s19, 1
	v_mad_u32_u24 v19, v1, 36, v17
	v_cmp_eq_u32_e64 s1, 0, v1
	v_add_nc_u32_e32 v20, s30, v0
	v_cndmask_b32_e32 v4, v1, v0, vcc_lo
	v_cndmask_b32_e32 v5, v0, v1, vcc_lo
	s_cselect_b32 s37, -1, 0
	s_and_b32 s38, s19, 0x7ffffffe
	v_add_nc_u32_e32 v21, 1, v1
	v_mad_u32_u24 v22, v1, 36, 36
	v_add_nc_u32_e32 v23, 0x144, v18
	v_mov_b32_e32 v24, 0
	s_bitcmp1_b32 s19, 0
	s_cselect_b32 s39, -1, 0
	s_branch .LBB2_13
.LBB2_11:                               ;   in Loop: Header=BB2_13 Depth=1
	s_mov_b32 s33, -1
.LBB2_12:                               ;   in Loop: Header=BB2_13 Depth=1
	s_add_i32 s30, s30, 1
	s_cmp_lt_i32 s30, s26
	s_cselect_b32 s3, -1, 0
	s_and_b32 s2, s2, s3
	s_and_b32 vcc_lo, exec_lo, s2
	s_cbranch_vccz .LBB2_60
.LBB2_13:                               ; =>This Loop Header: Depth=1
                                        ;     Child Loop BB2_17 Depth 2
                                        ;     Child Loop BB2_24 Depth 2
	;; [unrolled: 1-line block ×3, first 2 shown]
                                        ;       Child Loop BB2_49 Depth 3
                                        ;       Child Loop BB2_57 Depth 3
	s_ashr_i32 s31, s30, 31
	s_lshl_b64 s[2:3], s[30:31], 2
	s_add_u32 s2, s10, s2
	s_addc_u32 s3, s11, s3
	global_load_dword v6, v24, s[2:3]
	s_waitcnt vmcnt(0)
	v_readfirstlane_b32 s2, v6
	v_mov_b32_e32 v6, 0
	s_and_saveexec_b32 s3, s0
	s_cbranch_execz .LBB2_15
; %bb.14:                               ;   in Loop: Header=BB2_13 Depth=1
	v_mad_u64_u32 v[6:7], null, s30, s19, v[4:5]
	v_mad_u64_u32 v[6:7], null, v6, s19, v[5:6]
	v_mov_b32_e32 v7, v24
	v_lshlrev_b64 v[6:7], 2, v[6:7]
	v_add_co_u32 v6, vcc_lo, s12, v6
	v_add_co_ci_u32_e64 v7, null, s13, v7, vcc_lo
	global_load_dword v6, v[6:7], off
.LBB2_15:                               ;   in Loop: Header=BB2_13 Depth=1
	s_or_b32 exec_lo, exec_lo, s3
	s_sub_i32 s2, s2, s24
	s_waitcnt vmcnt(0)
	ds_write_b32 v19, v6
	s_ashr_i32 s3, s2, 31
	s_lshl_b64 s[34:35], s[2:3], 2
	s_add_u32 s2, s14, s34
	s_addc_u32 s3, s15, s35
	global_load_dword v7, v24, s[2:3]
	s_waitcnt vmcnt(0)
	v_cmp_eq_u32_e32 vcc_lo, -1, v7
	v_readfirstlane_b32 s3, v7
	v_cmp_ne_u32_e64 s2, -1, v7
	s_cbranch_vccnz .LBB2_11
; %bb.16:                               ;   in Loop: Header=BB2_13 Depth=1
	s_add_u32 s40, s8, s34
	s_addc_u32 s41, s9, s35
	s_add_u32 s34, s20, s34
	global_load_dword v6, v24, s[40:41] offset:4
	s_addc_u32 s35, s21, s35
	s_waitcnt vmcnt(0)
	v_readfirstlane_b32 s31, v6
.LBB2_17:                               ;   Parent Loop BB2_13 Depth=1
                                        ; =>  This Inner Loop Header: Depth=2
	global_load_dword v6, v24, s[34:35] glc dlc
	s_waitcnt vmcnt(0)
	v_cmp_eq_u32_e32 vcc_lo, 0, v6
	s_cbranch_vccnz .LBB2_17
; %bb.18:                               ;   in Loop: Header=BB2_13 Depth=1
	v_mov_b32_e32 v6, 0
	s_waitcnt lgkmcnt(0)
	buffer_gl1_inv
	buffer_gl0_inv
	s_and_saveexec_b32 s34, s0
	s_cbranch_execz .LBB2_20
; %bb.19:                               ;   in Loop: Header=BB2_13 Depth=1
	v_mad_u64_u32 v[6:7], null, s3, s19, v[4:5]
	v_mad_u64_u32 v[6:7], null, v6, s19, v[5:6]
	v_mov_b32_e32 v7, v24
	v_lshlrev_b64 v[6:7], 2, v[6:7]
	v_add_co_u32 v6, vcc_lo, s12, v6
	v_add_co_ci_u32_e64 v7, null, s13, v7, vcc_lo
	global_load_dword v6, v[6:7], off
.LBB2_20:                               ;   in Loop: Header=BB2_13 Depth=1
	s_or_b32 exec_lo, exec_lo, s34
	s_andn2_b32 vcc_lo, exec_lo, s27
	s_waitcnt vmcnt(0)
	ds_write_b32 v18, v6
	s_waitcnt lgkmcnt(0)
	buffer_gl0_inv
	s_cbranch_vccnz .LBB2_38
; %bb.21:                               ;   in Loop: Header=BB2_13 Depth=1
	s_andn2_b32 vcc_lo, exec_lo, s37
	s_mov_b32 s40, 0
	s_cbranch_vccnz .LBB2_32
; %bb.22:                               ;   in Loop: Header=BB2_13 Depth=1
	v_mov_b32_e32 v6, v17
	v_mov_b32_e32 v7, v23
	;; [unrolled: 1-line block ×3, first 2 shown]
	s_mov_b32 s34, 0
	s_mov_b32 s35, 0
	s_branch .LBB2_24
.LBB2_23:                               ;   in Loop: Header=BB2_24 Depth=2
	s_or_b32 exec_lo, exec_lo, s40
	v_add_nc_u32_e32 v8, 0x50, v8
	v_add_nc_u32_e32 v7, 0x48, v7
	;; [unrolled: 1-line block ×3, first 2 shown]
	s_add_i32 s35, s35, 2
	s_addk_i32 s34, 0x50
	s_cmp_eq_u32 s38, s35
	s_mov_b32 s40, s38
	s_waitcnt lgkmcnt(0)
	buffer_gl0_inv
	s_cbranch_scc1 .LBB2_32
.LBB2_24:                               ;   Parent Loop BB2_13 Depth=1
                                        ; =>  This Inner Loop Header: Depth=2
	v_mov_b32_e32 v9, s34
	ds_read_b32 v9, v9
	ds_read_b32 v10, v6
	s_waitcnt lgkmcnt(0)
	buffer_gl0_inv
	v_div_scale_f32 v25, null, v9, v9, v10
	v_rcp_f32_e32 v26, v25
	v_fma_f32 v27, -v25, v26, 1.0
	v_fmac_f32_e32 v26, v27, v26
	v_div_scale_f32 v27, vcc_lo, v10, v9, v10
	v_mul_f32_e32 v28, v27, v26
	v_fma_f32 v29, -v25, v28, v27
	v_fmac_f32_e32 v28, v29, v26
	v_fma_f32 v25, -v25, v28, v27
	v_div_fmas_f32 v25, v25, v26, v28
	v_div_fixup_f32 v10, v25, v9, v10
	s_and_saveexec_b32 s40, s1
; %bb.25:                               ;   in Loop: Header=BB2_24 Depth=2
	ds_write_b32 v6, v10
; %bb.26:                               ;   in Loop: Header=BB2_24 Depth=2
	s_or_b32 exec_lo, exec_lo, s40
	v_add_nc_u32_e32 v9, s35, v1
	s_mov_b32 s40, exec_lo
	v_add_nc_u32_e32 v25, 1, v9
	v_cmpx_gt_i32_e64 s19, v25
	s_cbranch_execz .LBB2_28
; %bb.27:                               ;   in Loop: Header=BB2_24 Depth=2
	ds_read_b32 v25, v8
	ds_read_b32 v26, v7
	s_waitcnt lgkmcnt(0)
	v_fma_f32 v10, -v10, v25, v26
	ds_write_b32 v7, v10
.LBB2_28:                               ;   in Loop: Header=BB2_24 Depth=2
	s_or_b32 exec_lo, exec_lo, s40
	v_mov_b32_e32 v10, s34
	s_waitcnt lgkmcnt(0)
	buffer_gl0_inv
	ds_read_b32 v10, v10 offset:40
	ds_read_b32 v25, v6 offset:36
	s_waitcnt lgkmcnt(0)
	buffer_gl0_inv
	v_div_scale_f32 v26, null, v10, v10, v25
	v_rcp_f32_e32 v27, v26
	v_fma_f32 v28, -v26, v27, 1.0
	v_fmac_f32_e32 v27, v28, v27
	v_div_scale_f32 v28, vcc_lo, v25, v10, v25
	v_mul_f32_e32 v29, v28, v27
	v_fma_f32 v30, -v26, v29, v28
	v_fmac_f32_e32 v29, v30, v27
	v_fma_f32 v26, -v26, v29, v28
	v_div_fmas_f32 v26, v26, v27, v29
	v_div_fixup_f32 v10, v26, v10, v25
	s_and_saveexec_b32 s40, s1
; %bb.29:                               ;   in Loop: Header=BB2_24 Depth=2
	ds_write_b32 v6, v10 offset:36
; %bb.30:                               ;   in Loop: Header=BB2_24 Depth=2
	s_or_b32 exec_lo, exec_lo, s40
	v_add_nc_u32_e32 v9, 2, v9
	s_mov_b32 s40, exec_lo
	v_cmpx_gt_i32_e64 s19, v9
	s_cbranch_execz .LBB2_23
; %bb.31:                               ;   in Loop: Header=BB2_24 Depth=2
	ds_read_b32 v9, v8 offset:40
	ds_read_b32 v25, v7 offset:36
	s_waitcnt lgkmcnt(0)
	v_fma_f32 v9, -v10, v9, v25
	ds_write_b32 v7, v9 offset:36
	s_branch .LBB2_23
.LBB2_32:                               ;   in Loop: Header=BB2_13 Depth=1
	s_andn2_b32 vcc_lo, exec_lo, s39
	s_cbranch_vccnz .LBB2_38
; %bb.33:                               ;   in Loop: Header=BB2_13 Depth=1
	s_mul_i32 s34, s40, 36
	s_lshl_b32 s35, s40, 2
	v_add_nc_u32_e32 v6, s34, v17
	s_add_i32 s41, s34, s35
	v_mov_b32_e32 v7, s41
	ds_read_b32 v7, v7
	ds_read_b32 v8, v6
	s_waitcnt lgkmcnt(0)
	buffer_gl0_inv
	v_div_scale_f32 v9, null, v7, v7, v8
	v_rcp_f32_e32 v10, v9
	v_fma_f32 v25, -v9, v10, 1.0
	v_fmac_f32_e32 v10, v25, v10
	v_div_scale_f32 v25, vcc_lo, v8, v7, v8
	v_mul_f32_e32 v26, v25, v10
	v_fma_f32 v27, -v9, v26, v25
	v_fmac_f32_e32 v26, v27, v10
	v_fma_f32 v9, -v9, v26, v25
	v_div_fmas_f32 v9, v9, v10, v26
	v_div_fixup_f32 v7, v9, v7, v8
	s_and_saveexec_b32 s41, s1
; %bb.34:                               ;   in Loop: Header=BB2_13 Depth=1
	ds_write_b32 v6, v7
; %bb.35:                               ;   in Loop: Header=BB2_13 Depth=1
	s_or_b32 exec_lo, exec_lo, s41
	v_add_nc_u32_e32 v8, s40, v21
	s_mov_b32 s40, exec_lo
	v_cmpx_gt_i32_e64 s19, v8
	s_cbranch_execz .LBB2_37
; %bb.36:                               ;   in Loop: Header=BB2_13 Depth=1
	v_mul_u32_u24_e32 v8, 36, v1
	v_mad_u32_u24 v6, v1, 36, v6
	v_add3_u32 v8, s35, s34, v8
	ds_read_b32 v8, v8 offset:36
	ds_read_b32 v9, v6 offset:36
	s_waitcnt lgkmcnt(0)
	v_fma_f32 v7, -v7, v8, v9
	ds_write_b32 v6, v7 offset:36
.LBB2_37:                               ;   in Loop: Header=BB2_13 Depth=1
	s_or_b32 exec_lo, exec_lo, s40
	s_waitcnt lgkmcnt(0)
	buffer_gl0_inv
.LBB2_38:                               ;   in Loop: Header=BB2_13 Depth=1
	s_and_saveexec_b32 s34, s0
	s_cbranch_execz .LBB2_40
; %bb.39:                               ;   in Loop: Header=BB2_13 Depth=1
	v_mad_u64_u32 v[6:7], null, s30, s19, v[4:5]
	ds_read_b32 v8, v19
	v_mad_u64_u32 v[6:7], null, v6, s19, v[5:6]
	v_mov_b32_e32 v7, v24
	v_lshlrev_b64 v[6:7], 2, v[6:7]
	v_add_co_u32 v6, vcc_lo, s12, v6
	v_add_co_ci_u32_e64 v7, null, s13, v7, vcc_lo
	s_waitcnt lgkmcnt(0)
	global_store_dword v[6:7], v8, off
.LBB2_40:                               ;   in Loop: Header=BB2_13 Depth=1
	s_or_b32 exec_lo, exec_lo, s34
	s_sub_i32 s31, s31, s24
	s_add_i32 s34, s3, 1
	s_cmp_ge_i32 s34, s31
	s_cbranch_scc1 .LBB2_12
; %bb.41:                               ;   in Loop: Header=BB2_13 Depth=1
	s_load_dword s3, s[4:5], 0xc
	s_waitcnt lgkmcnt(0)
	s_and_b32 s3, s3, 0xffff
	v_mad_u32_u24 v6, v1, s3, v20
	v_ashrrev_i32_e32 v7, 31, v6
	v_cmp_gt_i32_e64 s3, s25, v6
	v_lshlrev_b64 v[7:8], 2, v[6:7]
	v_add_co_u32 v7, vcc_lo, s10, v7
	v_add_co_ci_u32_e64 v8, null, s11, v8, vcc_lo
	s_branch .LBB2_44
.LBB2_42:                               ;   in Loop: Header=BB2_44 Depth=2
	s_or_b32 exec_lo, exec_lo, s35
.LBB2_43:                               ;   in Loop: Header=BB2_44 Depth=2
	s_add_i32 s34, s34, 1
	s_waitcnt_vscnt null, 0x0
	buffer_gl0_inv
	s_cmp_lt_i32 s34, s31
	s_cbranch_scc0 .LBB2_12
.LBB2_44:                               ;   Parent Loop BB2_13 Depth=1
                                        ; =>  This Loop Header: Depth=2
                                        ;       Child Loop BB2_49 Depth 3
                                        ;       Child Loop BB2_57 Depth 3
	s_ashr_i32 s35, s34, 31
	v_mov_b32_e32 v10, s29
	s_lshl_b64 s[40:41], s[34:35], 2
	s_add_u32 s40, s10, s40
	s_addc_u32 s41, s11, s41
	global_load_dword v9, v24, s[40:41]
	s_and_saveexec_b32 s35, s3
	s_cbranch_execz .LBB2_46
; %bb.45:                               ;   in Loop: Header=BB2_44 Depth=2
	global_load_dword v10, v[7:8], off
	s_waitcnt vmcnt(0)
	v_subrev_nc_u32_e32 v10, s24, v10
.LBB2_46:                               ;   in Loop: Header=BB2_44 Depth=2
	s_or_b32 exec_lo, exec_lo, s35
	s_waitcnt vmcnt(0)
	v_subrev_nc_u32_e32 v25, s24, v9
	v_mov_b32_e32 v26, v6
	s_mov_b32 s35, exec_lo
	v_cmpx_lt_i32_e64 v10, v25
	s_cbranch_execz .LBB2_52
; %bb.47:                               ;   in Loop: Header=BB2_44 Depth=2
	v_mov_b32_e32 v9, v6
	s_mov_b32 s40, 0
	s_branch .LBB2_49
	.p2align	6
.LBB2_48:                               ;   in Loop: Header=BB2_49 Depth=3
	s_or_b32 exec_lo, exec_lo, s41
	v_cmp_ge_i32_e32 vcc_lo, v10, v25
	v_mov_b32_e32 v9, v26
	s_or_b32 s40, vcc_lo, s40
	s_andn2_b32 exec_lo, exec_lo, s40
	s_cbranch_execz .LBB2_51
.LBB2_49:                               ;   Parent Loop BB2_13 Depth=1
                                        ;     Parent Loop BB2_44 Depth=2
                                        ; =>    This Inner Loop Header: Depth=3
	v_add_nc_u32_e32 v26, 64, v9
	v_mov_b32_e32 v10, s29
	s_mov_b32 s41, exec_lo
	v_cmpx_gt_i32_e64 s25, v26
	s_cbranch_execz .LBB2_48
; %bb.50:                               ;   in Loop: Header=BB2_49 Depth=3
	v_ashrrev_i32_e32 v10, 31, v9
	v_lshlrev_b64 v[9:10], 2, v[9:10]
	v_add_co_u32 v9, vcc_lo, s10, v9
	v_add_co_ci_u32_e64 v10, null, s11, v10, vcc_lo
	global_load_dword v9, v[9:10], off offset:256
	s_waitcnt vmcnt(0)
	v_subrev_nc_u32_e32 v10, s24, v9
	s_branch .LBB2_48
.LBB2_51:                               ;   in Loop: Header=BB2_44 Depth=2
	s_or_b32 exec_lo, exec_lo, s40
.LBB2_52:                               ;   in Loop: Header=BB2_44 Depth=2
	s_or_b32 exec_lo, exec_lo, s35
	v_cmp_eq_u32_e32 vcc_lo, v10, v25
	s_cbranch_vccz .LBB2_43
; %bb.53:                               ;   in Loop: Header=BB2_44 Depth=2
	s_ff1_i32_b32 s35, vcc_lo
	v_mov_b32_e32 v25, 0
	s_lshl_b32 s35, s35, 2
	v_mov_b32_e32 v9, s35
	ds_bpermute_b32 v10, v9, v26
	v_mov_b32_e32 v9, 0
	s_and_saveexec_b32 s35, s0
	s_cbranch_execz .LBB2_55
; %bb.54:                               ;   in Loop: Header=BB2_44 Depth=2
	v_mad_u64_u32 v[25:26], null, s34, s19, v[4:5]
	v_mad_u64_u32 v[25:26], null, v25, s19, v[5:6]
	v_mov_b32_e32 v26, v24
	v_lshlrev_b64 v[25:26], 2, v[25:26]
	v_add_co_u32 v25, vcc_lo, s12, v25
	v_add_co_ci_u32_e64 v26, null, s13, v26, vcc_lo
	global_load_dword v25, v[25:26], off
.LBB2_55:                               ;   in Loop: Header=BB2_44 Depth=2
	s_or_b32 exec_lo, exec_lo, s35
	s_andn2_b32 vcc_lo, exec_lo, s27
	s_waitcnt vmcnt(0)
	ds_write_b32 v18, v25
	s_waitcnt lgkmcnt(0)
	s_waitcnt_vscnt null, 0x0
	buffer_gl0_inv
	s_cbranch_vccnz .LBB2_58
; %bb.56:                               ;   in Loop: Header=BB2_44 Depth=2
	v_mov_b32_e32 v9, 0
	v_mov_b32_e32 v25, v17
	;; [unrolled: 1-line block ×3, first 2 shown]
	s_mov_b32 s35, s19
.LBB2_57:                               ;   Parent Loop BB2_13 Depth=1
                                        ;     Parent Loop BB2_44 Depth=2
                                        ; =>    This Inner Loop Header: Depth=3
	ds_read_b32 v27, v25
	ds_read_b32 v28, v26
	v_add_nc_u32_e32 v26, 4, v26
	v_add_nc_u32_e32 v25, 36, v25
	s_add_i32 s35, s35, -1
	s_cmp_eq_u32 s35, 0
	s_waitcnt lgkmcnt(0)
	v_fmac_f32_e32 v9, v27, v28
	s_cbranch_scc0 .LBB2_57
.LBB2_58:                               ;   in Loop: Header=BB2_44 Depth=2
	s_and_saveexec_b32 s35, s0
	s_cbranch_execz .LBB2_42
; %bb.59:                               ;   in Loop: Header=BB2_44 Depth=2
	v_mad_u64_u32 v[25:26], null, v10, s19, v[4:5]
	v_mad_u64_u32 v[25:26], null, v25, s19, v[5:6]
	v_mov_b32_e32 v26, v24
	v_lshlrev_b64 v[25:26], 2, v[25:26]
	v_add_co_u32 v25, vcc_lo, s12, v25
	v_add_co_ci_u32_e64 v26, null, s13, v26, vcc_lo
	global_load_dword v10, v[25:26], off
	s_waitcnt vmcnt(0)
	v_sub_f32_e32 v9, v10, v9
	global_store_dword v[25:26], v9, off
	s_branch .LBB2_42
.LBB2_60:
	s_ashr_i32 s27, s26, 31
	v_mov_b32_e32 v5, 0
	s_lshl_b64 s[0:1], s[26:27], 2
	s_add_u32 s0, s10, s0
	s_addc_u32 s1, s11, s1
	global_load_dword v4, v5, s[0:1]
	s_waitcnt vmcnt(0)
	v_subrev_nc_u32_e32 v4, s24, v4
	v_cmp_ne_u32_e32 vcc_lo, s18, v4
	s_cbranch_vccnz .LBB2_86
; %bb.61:
	v_cmp_gt_u32_e64 s0, s19, v12
	s_and_saveexec_b32 s1, s0
	s_cbranch_execz .LBB2_63
; %bb.62:
	s_cmp_eq_u32 s28, 0
	s_cselect_b32 vcc_lo, -1, 0
	v_cndmask_b32_e32 v4, v1, v0, vcc_lo
	v_mad_u64_u32 v[4:5], null, s26, s19, v[4:5]
	v_cndmask_b32_e32 v5, v0, v1, vcc_lo
	v_mad_u64_u32 v[4:5], null, v4, s19, v[5:6]
	v_mov_b32_e32 v5, 0
	v_lshlrev_b64 v[4:5], 2, v[4:5]
	v_add_co_u32 v4, vcc_lo, s12, v4
	v_add_co_ci_u32_e64 v5, null, s13, v5, vcc_lo
	global_load_dword v5, v[4:5], off
.LBB2_63:
	s_or_b32 exec_lo, exec_lo, s1
	v_mad_u32_u24 v4, v1, 36, v14
	s_cmp_lt_i32 s19, 1
	s_waitcnt vmcnt(0)
	ds_write_b32 v4, v5
	s_waitcnt lgkmcnt(0)
	s_waitcnt_vscnt null, 0x0
	buffer_gl0_inv
	s_cbranch_scc1 .LBB2_83
; %bb.64:
	v_cvt_f64_f32_e32 v[9:10], v16
	v_or_b32_e32 v16, v0, v1
	s_cmp_eq_u64 s[16:17], 8
	v_cmp_eq_u32_e64 s1, 0, v1
	s_cselect_b32 vcc_lo, -1, 0
	v_add3_u32 v5, v13, v14, 40
	v_mad_u32_u24 v6, v1, 36, 36
	v_add_nc_u32_e32 v7, 1, v0
	v_add_nc_u32_e32 v8, 4, v14
	v_cmp_eq_u32_e64 s2, 0, v16
	s_mov_b32 s3, 0
	s_mov_b32 s4, s19
	;; [unrolled: 1-line block ×3, first 2 shown]
	v_cndmask_b32_e32 v3, v10, v3, vcc_lo
	v_cndmask_b32_e32 v2, v9, v2, vcc_lo
	v_mov_b32_e32 v9, v11
.LBB2_65:                               ; =>This Inner Loop Header: Depth=1
	v_mov_b32_e32 v10, s3
	s_andn2_b32 vcc_lo, exec_lo, s36
	s_mov_b32 s8, 0
	s_mov_b32 s9, -1
	s_waitcnt lgkmcnt(0)
	ds_read_b32 v16, v10
                                        ; implicit-def: $vgpr10
	s_cbranch_vccz .LBB2_72
; %bb.66:                               ;   in Loop: Header=BB2_65 Depth=1
	s_andn2_b32 vcc_lo, exec_lo, s9
	s_mov_b32 s9, 0
	s_cbranch_vccz .LBB2_75
.LBB2_67:                               ;   in Loop: Header=BB2_65 Depth=1
	s_andn2_b32 vcc_lo, exec_lo, s8
                                        ; implicit-def: $sgpr8
	s_cbranch_vccz .LBB2_76
.LBB2_68:                               ;   in Loop: Header=BB2_65 Depth=1
	s_andn2_b32 vcc_lo, exec_lo, s9
	s_cbranch_vccnz .LBB2_70
.LBB2_69:                               ;   in Loop: Header=BB2_65 Depth=1
	s_add_i32 s8, s5, 1
	s_mov_b32 s33, -1
.LBB2_70:                               ;   in Loop: Header=BB2_65 Depth=1
	v_add_nc_u32_e32 v5, 40, v5
	v_add_nc_u32_e32 v6, 40, v6
	;; [unrolled: 1-line block ×5, first 2 shown]
	s_add_i32 s4, s4, -1
	s_add_i32 s3, s3, 40
	s_cmp_eq_u32 s4, 0
	s_cbranch_scc1 .LBB2_83
; %bb.71:                               ;   in Loop: Header=BB2_65 Depth=1
	s_mov_b32 s5, s8
	s_branch .LBB2_65
.LBB2_72:                               ;   in Loop: Header=BB2_65 Depth=1
	s_waitcnt lgkmcnt(0)
	v_cmp_gt_f32_e32 vcc_lo, 0, v16
	buffer_gl0_inv
	v_cndmask_b32_e64 v10, v16, -v16, vcc_lo
	v_cvt_f64_f32_e32 v[17:18], v10
	v_cmp_ge_f64_e32 vcc_lo, v[2:3], v[17:18]
	v_cndmask_b32_e32 v10, v16, v15, vcc_lo
	s_and_saveexec_b32 s8, s2
; %bb.73:                               ;   in Loop: Header=BB2_65 Depth=1
	v_mov_b32_e32 v17, s3
	ds_write_b32 v17, v10
; %bb.74:                               ;   in Loop: Header=BB2_65 Depth=1
	s_or_b32 exec_lo, exec_lo, s8
	s_mov_b32 s8, -1
	s_mov_b32 s9, 0
	s_cbranch_execnz .LBB2_67
.LBB2_75:                               ;   in Loop: Header=BB2_65 Depth=1
	s_waitcnt lgkmcnt(0)
	v_cmp_neq_f32_e64 s8, 0, v16
	v_mov_b32_e32 v10, v16
	s_mov_b32 s9, -1
	s_andn2_b32 vcc_lo, exec_lo, s8
                                        ; implicit-def: $sgpr8
	s_cbranch_vccnz .LBB2_68
.LBB2_76:                               ;   in Loop: Header=BB2_65 Depth=1
	s_mov_b32 s8, exec_lo
	v_cmpx_gt_i32_e64 s19, v7
	s_cbranch_execz .LBB2_81
; %bb.77:                               ;   in Loop: Header=BB2_65 Depth=1
	s_waitcnt lgkmcnt(0)
	ds_read_b32 v16, v8
	s_waitcnt lgkmcnt(0)
	buffer_gl0_inv
	v_div_scale_f32 v17, null, v10, v10, v16
	v_rcp_f32_e32 v18, v17
	v_fma_f32 v19, -v17, v18, 1.0
	v_fmac_f32_e32 v18, v19, v18
	v_div_scale_f32 v19, vcc_lo, v16, v10, v16
	v_mul_f32_e32 v20, v19, v18
	v_fma_f32 v21, -v17, v20, v19
	v_fmac_f32_e32 v20, v21, v18
	v_fma_f32 v17, -v17, v20, v19
	v_div_fmas_f32 v17, v17, v18, v20
	v_div_fixup_f32 v10, v17, v10, v16
	s_and_saveexec_b32 s9, s1
; %bb.78:                               ;   in Loop: Header=BB2_65 Depth=1
	ds_write_b32 v8, v10
; %bb.79:                               ;   in Loop: Header=BB2_65 Depth=1
	s_or_b32 exec_lo, exec_lo, s9
	v_cmp_gt_i32_e32 vcc_lo, s19, v9
	s_and_b32 exec_lo, exec_lo, vcc_lo
	s_cbranch_execz .LBB2_81
; %bb.80:                               ;   in Loop: Header=BB2_65 Depth=1
	ds_read_b32 v16, v6
	ds_read_b32 v17, v5
	s_waitcnt lgkmcnt(0)
	v_fma_f32 v10, -v10, v16, v17
	ds_write_b32 v5, v10
.LBB2_81:                               ;   in Loop: Header=BB2_65 Depth=1
	s_or_b32 exec_lo, exec_lo, s8
	s_add_i32 s8, s5, 1
	s_cbranch_execz .LBB2_69
	s_branch .LBB2_70
.LBB2_82:
	s_mov_b32 s33, -1
	s_branch .LBB2_110
.LBB2_83:
	s_waitcnt lgkmcnt(0)
	buffer_gl0_inv
	s_and_saveexec_b32 s1, s0
	s_cbranch_execz .LBB2_85
; %bb.84:
	s_cmp_eq_u32 s28, 0
	s_cselect_b32 vcc_lo, -1, 0
	v_cndmask_b32_e32 v2, v1, v0, vcc_lo
	v_mad_u64_u32 v[2:3], null, s26, s19, v[2:3]
	v_cndmask_b32_e32 v3, v0, v1, vcc_lo
	v_mad_u64_u32 v[2:3], null, v2, s19, v[3:4]
	ds_read_b32 v4, v4
	v_mov_b32_e32 v3, 0
	v_lshlrev_b64 v[2:3], 2, v[2:3]
	v_add_co_u32 v2, vcc_lo, s12, v2
	v_add_co_ci_u32_e64 v3, null, s13, v3, vcc_lo
	s_waitcnt lgkmcnt(0)
	global_store_dword v[2:3], v4, off
.LBB2_85:
	s_or_b32 exec_lo, exec_lo, s1
.LBB2_86:
	s_add_i32 s1, s26, 1
	s_cmp_ge_i32 s1, s25
	s_cbranch_scc1 .LBB2_110
; %bb.87:
	s_cmp_eq_u32 s28, 0
	v_lshlrev_b32_e32 v8, 2, v1
	s_cselect_b32 vcc_lo, -1, 0
	s_cmp_gt_i32 s19, 0
	v_mul_u32_u24_e32 v5, 36, v0
	s_cselect_b32 s2, -1, 0
	s_add_i32 s4, s19, -1
	s_and_b32 s3, s19, 3
	s_cmp_gt_u32 s4, 2
	v_add3_u32 v7, v13, v14, 0x120
	v_cmp_gt_u32_e64 s0, s19, v12
	v_cndmask_b32_e32 v2, v1, v0, vcc_lo
	v_cndmask_b32_e32 v3, v0, v1, vcc_lo
	s_cselect_b32 s4, -1, 0
	s_and_b32 s5, s19, 0x7ffffffc
	v_mad_u32_u24 v9, v0, 36, 0x120
	v_add_nc_u32_e32 v4, 4, v8
	v_add3_u32 v10, v5, v8, 0x124
	v_mov_b32_e32 v12, 0
	s_cmp_lg_u32 s3, 0
	s_cselect_b32 s8, -1, 0
	s_branch .LBB2_89
.LBB2_88:                               ;   in Loop: Header=BB2_89 Depth=1
	s_or_b32 exec_lo, exec_lo, s9
	s_add_i32 s1, s1, 1
	s_cmp_lt_i32 s1, s25
	s_cbranch_scc0 .LBB2_110
.LBB2_89:                               ; =>This Loop Header: Depth=1
                                        ;     Child Loop BB2_95 Depth 2
                                        ;     Child Loop BB2_106 Depth 2
	v_mov_b32_e32 v5, 0
	s_waitcnt lgkmcnt(0)
	s_waitcnt_vscnt null, 0x0
	buffer_gl0_inv
	s_and_saveexec_b32 s9, s0
	s_cbranch_execz .LBB2_91
; %bb.90:                               ;   in Loop: Header=BB2_89 Depth=1
	v_mad_u64_u32 v[5:6], null, s1, s19, v[2:3]
	v_mad_u64_u32 v[5:6], null, v5, s19, v[3:4]
	v_mov_b32_e32 v6, v12
	v_lshlrev_b64 v[5:6], 2, v[5:6]
	v_add_co_u32 v5, vcc_lo, s12, v5
	v_add_co_ci_u32_e64 v6, null, s13, v6, vcc_lo
	global_load_dword v5, v[5:6], off
.LBB2_91:                               ;   in Loop: Header=BB2_89 Depth=1
	s_or_b32 exec_lo, exec_lo, s9
	s_andn2_b32 vcc_lo, exec_lo, s2
	s_waitcnt vmcnt(0)
	ds_write_b32 v7, v5
	s_waitcnt lgkmcnt(0)
	buffer_gl0_inv
	s_cbranch_vccnz .LBB2_108
; %bb.92:                               ;   in Loop: Header=BB2_89 Depth=1
	s_andn2_b32 vcc_lo, exec_lo, s4
	s_mov_b32 s11, 0
	s_cbranch_vccnz .LBB2_103
; %bb.93:                               ;   in Loop: Header=BB2_89 Depth=1
	v_mov_b32_e32 v5, v9
	s_mov_b32 s9, 0
	s_mov_b32 s10, 4
	s_branch .LBB2_95
.LBB2_94:                               ;   in Loop: Header=BB2_95 Depth=2
	s_or_b32 exec_lo, exec_lo, s11
	v_add_nc_u32_e32 v5, 16, v5
	s_add_i32 s9, s9, 4
	s_addk_i32 s10, 0xa0
	s_cmp_eq_u32 s5, s9
	s_mov_b32 s11, s5
	s_cbranch_scc1 .LBB2_103
.LBB2_95:                               ;   Parent Loop BB2_89 Depth=1
                                        ; =>  This Inner Loop Header: Depth=2
	v_add_nc_u32_e32 v14, s9, v1
	v_add_nc_u32_e32 v13, s10, v8
	;; [unrolled: 1-line block ×3, first 2 shown]
	v_cmp_gt_i32_e32 vcc_lo, s19, v6
	v_add_nc_u32_e32 v6, v5, v8
	s_and_saveexec_b32 s11, vcc_lo
	s_cbranch_execz .LBB2_97
; %bb.96:                               ;   in Loop: Header=BB2_95 Depth=2
	ds_read_b32 v15, v13
	ds_read_b32 v16, v5
	ds_read_b32 v17, v6 offset:4
	s_waitcnt lgkmcnt(0)
	v_fma_f32 v15, -v15, v16, v17
	ds_write_b32 v6, v15 offset:4
.LBB2_97:                               ;   in Loop: Header=BB2_95 Depth=2
	s_or_b32 exec_lo, exec_lo, s11
	v_add_nc_u32_e32 v15, 2, v14
	s_mov_b32 s11, exec_lo
	v_cmpx_gt_i32_e64 s19, v15
	s_cbranch_execz .LBB2_99
; %bb.98:                               ;   in Loop: Header=BB2_95 Depth=2
	ds_read_b32 v15, v13 offset:40
	ds_read_b32 v16, v5 offset:4
	;; [unrolled: 1-line block ×3, first 2 shown]
	s_waitcnt lgkmcnt(0)
	v_fma_f32 v15, -v15, v16, v17
	ds_write_b32 v6, v15 offset:8
.LBB2_99:                               ;   in Loop: Header=BB2_95 Depth=2
	s_or_b32 exec_lo, exec_lo, s11
	v_add_nc_u32_e32 v15, 3, v14
	s_mov_b32 s11, exec_lo
	v_cmpx_gt_i32_e64 s19, v15
	s_cbranch_execz .LBB2_101
; %bb.100:                              ;   in Loop: Header=BB2_95 Depth=2
	ds_read_b32 v15, v13 offset:80
	ds_read_b32 v16, v5 offset:8
	;; [unrolled: 1-line block ×3, first 2 shown]
	s_waitcnt lgkmcnt(0)
	v_fma_f32 v15, -v15, v16, v17
	ds_write_b32 v6, v15 offset:12
.LBB2_101:                              ;   in Loop: Header=BB2_95 Depth=2
	s_or_b32 exec_lo, exec_lo, s11
	v_add_nc_u32_e32 v14, 4, v14
	s_mov_b32 s11, exec_lo
	v_cmpx_gt_i32_e64 s19, v14
	s_cbranch_execz .LBB2_94
; %bb.102:                              ;   in Loop: Header=BB2_95 Depth=2
	ds_read_b32 v13, v13 offset:120
	ds_read_b32 v14, v5 offset:12
	;; [unrolled: 1-line block ×3, first 2 shown]
	s_waitcnt lgkmcnt(0)
	v_fma_f32 v13, -v13, v14, v15
	ds_write_b32 v6, v13 offset:16
	s_branch .LBB2_94
.LBB2_103:                              ;   in Loop: Header=BB2_89 Depth=1
	s_andn2_b32 vcc_lo, exec_lo, s8
	s_cbranch_vccnz .LBB2_108
; %bb.104:                              ;   in Loop: Header=BB2_89 Depth=1
	v_mad_u64_u32 v[5:6], null, s11, 40, v[4:5]
	s_lshl_b32 s9, s11, 2
	v_add_nc_u32_e32 v14, s11, v11
	v_add_nc_u32_e32 v6, s9, v10
	;; [unrolled: 1-line block ×3, first 2 shown]
	s_mov_b32 s9, s3
	s_branch .LBB2_106
	.p2align	6
.LBB2_105:                              ;   in Loop: Header=BB2_106 Depth=2
	s_or_b32 exec_lo, exec_lo, s10
	v_add_nc_u32_e32 v5, 40, v5
	v_add_nc_u32_e32 v6, 4, v6
	;; [unrolled: 1-line block ×4, first 2 shown]
	s_add_i32 s9, s9, -1
	s_cmp_lg_u32 s9, 0
	s_cbranch_scc0 .LBB2_108
.LBB2_106:                              ;   Parent Loop BB2_89 Depth=1
                                        ; =>  This Inner Loop Header: Depth=2
	s_mov_b32 s10, exec_lo
	v_cmpx_gt_i32_e64 s19, v14
	s_cbranch_execz .LBB2_105
; %bb.107:                              ;   in Loop: Header=BB2_106 Depth=2
	ds_read_b32 v15, v5
	ds_read_b32 v16, v13
	ds_read_b32 v17, v6
	s_waitcnt lgkmcnt(0)
	v_fma_f32 v15, -v15, v16, v17
	ds_write_b32 v6, v15
	s_branch .LBB2_105
.LBB2_108:                              ;   in Loop: Header=BB2_89 Depth=1
	s_waitcnt lgkmcnt(0)
	buffer_gl0_inv
	s_and_saveexec_b32 s9, s0
	s_cbranch_execz .LBB2_88
; %bb.109:                              ;   in Loop: Header=BB2_89 Depth=1
	v_mad_u64_u32 v[5:6], null, s1, s19, v[2:3]
	ds_read_b32 v13, v7
	v_mad_u64_u32 v[5:6], null, v5, s19, v[3:4]
	v_mov_b32_e32 v6, v12
	v_lshlrev_b64 v[5:6], 2, v[5:6]
	v_add_co_u32 v5, vcc_lo, s12, v5
	v_add_co_ci_u32_e64 v6, null, s13, v6, vcc_lo
	s_waitcnt lgkmcnt(0)
	global_store_dword v[5:6], v13, off
	s_branch .LBB2_88
.LBB2_110:
	v_or_b32_e32 v0, v0, v1
	s_mov_b32 s0, exec_lo
	v_cmpx_eq_u32_e32 0, v0
	s_cbranch_execz .LBB2_114
; %bb.111:
	v_mov_b32_e32 v0, 0
	v_mov_b32_e32 v1, 1
	s_add_u32 s0, s20, s22
	s_addc_u32 s1, s21, s23
	s_andn2_b32 vcc_lo, exec_lo, s33
	s_waitcnt vmcnt(0) lgkmcnt(0)
	s_waitcnt_vscnt null, 0x0
	global_store_dword v0, v1, s[0:1]
	s_cbranch_vccnz .LBB2_114
; %bb.112:
	v_mbcnt_lo_u32_b32 v0, exec_lo, 0
	v_cmp_eq_u32_e32 vcc_lo, 0, v0
	s_and_b32 exec_lo, exec_lo, vcc_lo
	s_cbranch_execz .LBB2_114
; %bb.113:
	s_add_i32 s0, s18, s24
	v_mov_b32_e32 v0, 0
	v_mov_b32_e32 v1, s0
	global_atomic_smin v0, v1, s[6:7]
.LBB2_114:
	s_endpgm
	.section	.rodata,"a",@progbits
	.p2align	6, 0x0
	.amdhsa_kernel _ZN9rocsparseL11bsrilu0_2_8ILj64ELj64ELj8EfEEv20rocsparse_direction_iPKiS3_PT2_S3_iPiS3_S6_21rocsparse_index_base_imNS_24const_host_device_scalarIfEENS8_IdEENS8_IS4_EEb
		.amdhsa_group_segment_fixed_size 576
		.amdhsa_private_segment_fixed_size 0
		.amdhsa_kernarg_size 376
		.amdhsa_user_sgpr_count 6
		.amdhsa_user_sgpr_private_segment_buffer 1
		.amdhsa_user_sgpr_dispatch_ptr 0
		.amdhsa_user_sgpr_queue_ptr 0
		.amdhsa_user_sgpr_kernarg_segment_ptr 1
		.amdhsa_user_sgpr_dispatch_id 0
		.amdhsa_user_sgpr_flat_scratch_init 0
		.amdhsa_user_sgpr_private_segment_size 0
		.amdhsa_wavefront_size32 1
		.amdhsa_uses_dynamic_stack 0
		.amdhsa_system_sgpr_private_segment_wavefront_offset 0
		.amdhsa_system_sgpr_workgroup_id_x 1
		.amdhsa_system_sgpr_workgroup_id_y 0
		.amdhsa_system_sgpr_workgroup_id_z 0
		.amdhsa_system_sgpr_workgroup_info 0
		.amdhsa_system_vgpr_workitem_id 1
		.amdhsa_next_free_vgpr 31
		.amdhsa_next_free_sgpr 42
		.amdhsa_reserve_vcc 1
		.amdhsa_reserve_flat_scratch 0
		.amdhsa_float_round_mode_32 0
		.amdhsa_float_round_mode_16_64 0
		.amdhsa_float_denorm_mode_32 3
		.amdhsa_float_denorm_mode_16_64 3
		.amdhsa_dx10_clamp 1
		.amdhsa_ieee_mode 1
		.amdhsa_fp16_overflow 0
		.amdhsa_workgroup_processor_mode 1
		.amdhsa_memory_ordered 1
		.amdhsa_forward_progress 1
		.amdhsa_shared_vgpr_count 0
		.amdhsa_exception_fp_ieee_invalid_op 0
		.amdhsa_exception_fp_denorm_src 0
		.amdhsa_exception_fp_ieee_div_zero 0
		.amdhsa_exception_fp_ieee_overflow 0
		.amdhsa_exception_fp_ieee_underflow 0
		.amdhsa_exception_fp_ieee_inexact 0
		.amdhsa_exception_int_div_zero 0
	.end_amdhsa_kernel
	.section	.text._ZN9rocsparseL11bsrilu0_2_8ILj64ELj64ELj8EfEEv20rocsparse_direction_iPKiS3_PT2_S3_iPiS3_S6_21rocsparse_index_base_imNS_24const_host_device_scalarIfEENS8_IdEENS8_IS4_EEb,"axG",@progbits,_ZN9rocsparseL11bsrilu0_2_8ILj64ELj64ELj8EfEEv20rocsparse_direction_iPKiS3_PT2_S3_iPiS3_S6_21rocsparse_index_base_imNS_24const_host_device_scalarIfEENS8_IdEENS8_IS4_EEb,comdat
.Lfunc_end2:
	.size	_ZN9rocsparseL11bsrilu0_2_8ILj64ELj64ELj8EfEEv20rocsparse_direction_iPKiS3_PT2_S3_iPiS3_S6_21rocsparse_index_base_imNS_24const_host_device_scalarIfEENS8_IdEENS8_IS4_EEb, .Lfunc_end2-_ZN9rocsparseL11bsrilu0_2_8ILj64ELj64ELj8EfEEv20rocsparse_direction_iPKiS3_PT2_S3_iPiS3_S6_21rocsparse_index_base_imNS_24const_host_device_scalarIfEENS8_IdEENS8_IS4_EEb
                                        ; -- End function
	.set _ZN9rocsparseL11bsrilu0_2_8ILj64ELj64ELj8EfEEv20rocsparse_direction_iPKiS3_PT2_S3_iPiS3_S6_21rocsparse_index_base_imNS_24const_host_device_scalarIfEENS8_IdEENS8_IS4_EEb.num_vgpr, 31
	.set _ZN9rocsparseL11bsrilu0_2_8ILj64ELj64ELj8EfEEv20rocsparse_direction_iPKiS3_PT2_S3_iPiS3_S6_21rocsparse_index_base_imNS_24const_host_device_scalarIfEENS8_IdEENS8_IS4_EEb.num_agpr, 0
	.set _ZN9rocsparseL11bsrilu0_2_8ILj64ELj64ELj8EfEEv20rocsparse_direction_iPKiS3_PT2_S3_iPiS3_S6_21rocsparse_index_base_imNS_24const_host_device_scalarIfEENS8_IdEENS8_IS4_EEb.numbered_sgpr, 42
	.set _ZN9rocsparseL11bsrilu0_2_8ILj64ELj64ELj8EfEEv20rocsparse_direction_iPKiS3_PT2_S3_iPiS3_S6_21rocsparse_index_base_imNS_24const_host_device_scalarIfEENS8_IdEENS8_IS4_EEb.num_named_barrier, 0
	.set _ZN9rocsparseL11bsrilu0_2_8ILj64ELj64ELj8EfEEv20rocsparse_direction_iPKiS3_PT2_S3_iPiS3_S6_21rocsparse_index_base_imNS_24const_host_device_scalarIfEENS8_IdEENS8_IS4_EEb.private_seg_size, 0
	.set _ZN9rocsparseL11bsrilu0_2_8ILj64ELj64ELj8EfEEv20rocsparse_direction_iPKiS3_PT2_S3_iPiS3_S6_21rocsparse_index_base_imNS_24const_host_device_scalarIfEENS8_IdEENS8_IS4_EEb.uses_vcc, 1
	.set _ZN9rocsparseL11bsrilu0_2_8ILj64ELj64ELj8EfEEv20rocsparse_direction_iPKiS3_PT2_S3_iPiS3_S6_21rocsparse_index_base_imNS_24const_host_device_scalarIfEENS8_IdEENS8_IS4_EEb.uses_flat_scratch, 0
	.set _ZN9rocsparseL11bsrilu0_2_8ILj64ELj64ELj8EfEEv20rocsparse_direction_iPKiS3_PT2_S3_iPiS3_S6_21rocsparse_index_base_imNS_24const_host_device_scalarIfEENS8_IdEENS8_IS4_EEb.has_dyn_sized_stack, 0
	.set _ZN9rocsparseL11bsrilu0_2_8ILj64ELj64ELj8EfEEv20rocsparse_direction_iPKiS3_PT2_S3_iPiS3_S6_21rocsparse_index_base_imNS_24const_host_device_scalarIfEENS8_IdEENS8_IS4_EEb.has_recursion, 0
	.set _ZN9rocsparseL11bsrilu0_2_8ILj64ELj64ELj8EfEEv20rocsparse_direction_iPKiS3_PT2_S3_iPiS3_S6_21rocsparse_index_base_imNS_24const_host_device_scalarIfEENS8_IdEENS8_IS4_EEb.has_indirect_call, 0
	.section	.AMDGPU.csdata,"",@progbits
; Kernel info:
; codeLenInByte = 3932
; TotalNumSgprs: 44
; NumVgprs: 31
; ScratchSize: 0
; MemoryBound: 0
; FloatMode: 240
; IeeeMode: 1
; LDSByteSize: 576 bytes/workgroup (compile time only)
; SGPRBlocks: 0
; VGPRBlocks: 3
; NumSGPRsForWavesPerEU: 44
; NumVGPRsForWavesPerEU: 31
; Occupancy: 16
; WaveLimiterHint : 1
; COMPUTE_PGM_RSRC2:SCRATCH_EN: 0
; COMPUTE_PGM_RSRC2:USER_SGPR: 6
; COMPUTE_PGM_RSRC2:TRAP_HANDLER: 0
; COMPUTE_PGM_RSRC2:TGID_X_EN: 1
; COMPUTE_PGM_RSRC2:TGID_Y_EN: 0
; COMPUTE_PGM_RSRC2:TGID_Z_EN: 0
; COMPUTE_PGM_RSRC2:TIDIG_COMP_CNT: 1
	.section	.text._ZN9rocsparseL12bsrilu0_9_32ILj64ELj64ELj16EfEEv20rocsparse_direction_iPKiS3_PT2_S3_iPiS3_S6_21rocsparse_index_base_imNS_24const_host_device_scalarIfEENS8_IdEENS8_IS4_EEb,"axG",@progbits,_ZN9rocsparseL12bsrilu0_9_32ILj64ELj64ELj16EfEEv20rocsparse_direction_iPKiS3_PT2_S3_iPiS3_S6_21rocsparse_index_base_imNS_24const_host_device_scalarIfEENS8_IdEENS8_IS4_EEb,comdat
	.globl	_ZN9rocsparseL12bsrilu0_9_32ILj64ELj64ELj16EfEEv20rocsparse_direction_iPKiS3_PT2_S3_iPiS3_S6_21rocsparse_index_base_imNS_24const_host_device_scalarIfEENS8_IdEENS8_IS4_EEb ; -- Begin function _ZN9rocsparseL12bsrilu0_9_32ILj64ELj64ELj16EfEEv20rocsparse_direction_iPKiS3_PT2_S3_iPiS3_S6_21rocsparse_index_base_imNS_24const_host_device_scalarIfEENS8_IdEENS8_IS4_EEb
	.p2align	8
	.type	_ZN9rocsparseL12bsrilu0_9_32ILj64ELj64ELj16EfEEv20rocsparse_direction_iPKiS3_PT2_S3_iPiS3_S6_21rocsparse_index_base_imNS_24const_host_device_scalarIfEENS8_IdEENS8_IS4_EEb,@function
_ZN9rocsparseL12bsrilu0_9_32ILj64ELj64ELj16EfEEv20rocsparse_direction_iPKiS3_PT2_S3_iPiS3_S6_21rocsparse_index_base_imNS_24const_host_device_scalarIfEENS8_IdEENS8_IS4_EEb: ; @_ZN9rocsparseL12bsrilu0_9_32ILj64ELj64ELj16EfEEv20rocsparse_direction_iPKiS3_PT2_S3_iPiS3_S6_21rocsparse_index_base_imNS_24const_host_device_scalarIfEENS8_IdEENS8_IS4_EEb
; %bb.0:
	s_clause 0x2
	s_load_dword s0, s[4:5], 0x70
	s_load_dwordx2 s[24:25], s[4:5], 0x48
	s_load_dwordx8 s[16:23], s[4:5], 0x50
	s_waitcnt lgkmcnt(0)
	s_bitcmp1_b32 s0, 0
	s_cselect_b32 s0, -1, 0
	s_cmp_eq_u32 s25, 0
	s_cselect_b32 s2, -1, 0
	s_cmp_lg_u32 s25, 0
	s_cselect_b32 s36, -1, 0
	s_or_b32 s7, s2, s0
	s_xor_b32 s3, s7, -1
	s_and_b32 s0, s2, exec_lo
	s_cselect_b32 s1, 0, s21
	s_cselect_b32 s0, 0, s20
	s_and_b32 vcc_lo, exec_lo, s7
	s_cbranch_vccnz .LBB3_2
; %bb.1:
	s_load_dword s0, s[18:19], 0x0
	s_waitcnt lgkmcnt(0)
	v_mov_b32_e32 v13, s0
	s_mov_b64 s[0:1], s[20:21]
	s_branch .LBB3_3
.LBB3_2:
	v_cndmask_b32_e64 v13, s18, 0, s2
.LBB3_3:
	v_mov_b32_e32 v3, s1
	v_cndmask_b32_e64 v4, 0, 1, s3
	v_mov_b32_e32 v2, s0
	s_andn2_b32 vcc_lo, exec_lo, s3
	s_cbranch_vccnz .LBB3_5
; %bb.4:
	v_mov_b32_e32 v2, s20
	v_mov_b32_e32 v3, s21
	flat_load_dwordx2 v[2:3], v[2:3]
.LBB3_5:
	v_cmp_ne_u32_e32 vcc_lo, 1, v4
	s_mov_b32 s7, 0
	s_cbranch_vccnz .LBB3_7
; %bb.6:
	s_load_dword s0, s[22:23], 0x0
	s_waitcnt lgkmcnt(0)
	v_mov_b32_e32 v12, s0
	s_branch .LBB3_8
.LBB3_7:
	v_cndmask_b32_e64 v12, s22, 0, s2
.LBB3_8:
	s_clause 0x1
	s_load_dwordx4 s[20:23], s[4:5], 0x30
	s_load_dwordx2 s[18:19], s[4:5], 0x40
	s_lshl_b64 s[0:1], s[6:7], 2
	s_waitcnt lgkmcnt(0)
	s_add_u32 s0, s22, s0
	s_addc_u32 s1, s23, s1
	s_load_dword s22, s[0:1], 0x0
	s_load_dwordx8 s[8:15], s[4:5], 0x8
	s_waitcnt lgkmcnt(0)
	s_ashr_i32 s23, s22, 31
	s_lshl_b64 s[26:27], s[22:23], 2
	s_add_u32 s0, s14, s26
	s_addc_u32 s1, s15, s27
	s_load_dword s28, s[0:1], 0x0
	s_waitcnt lgkmcnt(0)
	s_cmp_eq_u32 s28, -1
	s_cbranch_scc1 .LBB3_126
; %bb.9:
	s_add_u32 s0, s8, s26
	s_addc_u32 s1, s9, s27
	s_mov_b32 s23, 0
	s_load_dwordx2 s[0:1], s[0:1], 0x0
	s_clause 0x1
	s_load_dwordx2 s[30:31], s[4:5], 0x0
	s_load_dword s25, s[4:5], 0x28
	s_waitcnt lgkmcnt(0)
	s_sub_i32 s34, s0, s24
	s_sub_i32 s33, s1, s24
	s_cmp_ge_i32 s34, s28
	s_cbranch_scc1 .LBB3_115
; %bb.10:
	v_lshlrev_b32_e32 v4, 4, v1
	v_mad_u64_u32 v[7:8], null, s25, s34, v[0:1]
	v_lshlrev_b32_e32 v9, 2, v0
	s_cmp_lg_u32 s30, 0
	v_add3_u32 v4, v4, v0, s34
	s_cselect_b32 s29, -1, 0
	s_cmp_gt_i32 s25, 0
	v_mad_u32_u24 v15, 0x44, v1, v9
	s_cselect_b32 s37, -1, 0
	v_ashrrev_i32_e32 v5, 31, v4
	s_add_i32 s31, s31, 1
	v_mul_lo_u32 v16, s25, v7
	s_cmp_lg_u32 s25, 1
	s_movk_i32 s5, 0x8c
	v_lshlrev_b64 v[5:6], 2, v[4:5]
	v_cmp_gt_i32_e64 s0, s25, v0
	v_cmp_le_i32_e64 s1, s25, v0
	v_cmp_gt_i32_e64 s2, s25, v1
	v_cmp_eq_u32_e64 s3, 0, v1
	v_add_nc_u32_e32 v14, 1, v1
	v_add_co_u32 v5, vcc_lo, s10, v5
	v_cmp_gt_i32_e64 s4, s33, v4
	v_add_co_ci_u32_e64 v6, null, s11, v6, vcc_lo
	s_cselect_b32 s38, -1, 0
	s_and_b32 s39, s25, 0x7ffffffe
	v_mul_u32_u24_e32 v17, 0x44, v1
	v_add_nc_u32_e32 v18, 0x440, v15
	v_add_nc_u32_e32 v19, 0x484, v15
	v_mad_u32_u24 v7, 0x44, v1, 0x44
	v_mad_u32_u24 v20, 0x44, v1, s5
	v_add_nc_u32_e32 v21, 0x4c8, v15
	v_add_nc_u32_e32 v8, 0x484, v9
	;; [unrolled: 1-line block ×3, first 2 shown]
	v_mov_b32_e32 v23, 0
	s_bitcmp1_b32 s25, 0
	s_mul_i32 s41, s25, s25
	s_cselect_b32 s40, -1, 0
	s_lshl_b32 s42, s25, 4
	s_branch .LBB3_13
.LBB3_11:                               ;   in Loop: Header=BB3_13 Depth=1
	s_mov_b32 s23, -1
.LBB3_12:                               ;   in Loop: Header=BB3_13 Depth=1
	s_add_i32 s34, s34, 1
	v_add_nc_u32_e32 v16, s41, v16
	s_cmp_lt_i32 s34, s28
	s_cselect_b32 s6, -1, 0
	s_and_b32 s5, s5, s6
	s_and_b32 vcc_lo, exec_lo, s5
	s_cbranch_vccz .LBB3_115
.LBB3_13:                               ; =>This Loop Header: Depth=1
                                        ;     Child Loop BB3_16 Depth 2
                                        ;       Child Loop BB3_19 Depth 3
                                        ;     Child Loop BB3_25 Depth 2
                                        ;     Child Loop BB3_29 Depth 2
                                        ;       Child Loop BB3_32 Depth 3
                                        ;     Child Loop BB3_41 Depth 2
                                        ;       Child Loop BB3_46 Depth 3
                                        ;         Child Loop BB3_50 Depth 4
                                        ;       Child Loop BB3_53 Depth 3
                                        ;         Child Loop BB3_57 Depth 4
                                        ;     Child Loop BB3_62 Depth 2
                                        ;       Child Loop BB3_66 Depth 3
                                        ;     Child Loop BB3_71 Depth 2
                                        ;       Child Loop BB3_74 Depth 3
	;; [unrolled: 2-line block ×3, first 2 shown]
                                        ;       Child Loop BB3_97 Depth 3
                                        ;         Child Loop BB3_100 Depth 4
                                        ;       Child Loop BB3_106 Depth 3
                                        ;         Child Loop BB3_109 Depth 4
                                        ;           Child Loop BB3_110 Depth 5
	s_ashr_i32 s35, s34, 31
	s_lshl_b64 s[6:7], s[34:35], 2
	s_add_u32 s6, s10, s6
	s_addc_u32 s7, s11, s7
	global_load_dword v9, v23, s[6:7]
	s_waitcnt vmcnt(0)
	v_readfirstlane_b32 s5, v9
	s_and_saveexec_b32 s6, s0
	s_cbranch_execz .LBB3_23
; %bb.14:                               ;   in Loop: Header=BB3_13 Depth=1
	v_mov_b32_e32 v24, v18
	v_mov_b32_e32 v25, v16
	;; [unrolled: 1-line block ×3, first 2 shown]
	s_mul_i32 s7, s34, s25
	s_mov_b32 s35, 0
	s_inst_prefetch 0x1
	s_branch .LBB3_16
	.p2align	6
.LBB3_15:                               ;   in Loop: Header=BB3_16 Depth=2
	s_or_b32 exec_lo, exec_lo, s43
	v_add_nc_u32_e32 v9, 16, v9
	v_add_nc_u32_e32 v25, s42, v25
	;; [unrolled: 1-line block ×3, first 2 shown]
	v_cmp_le_i32_e32 vcc_lo, s25, v9
	s_or_b32 s35, vcc_lo, s35
	s_andn2_b32 exec_lo, exec_lo, s35
	s_cbranch_execz .LBB3_23
.LBB3_16:                               ;   Parent Loop BB3_13 Depth=1
                                        ; =>  This Loop Header: Depth=2
                                        ;       Child Loop BB3_19 Depth 3
	s_and_saveexec_b32 s43, s2
	s_cbranch_execz .LBB3_15
; %bb.17:                               ;   in Loop: Header=BB3_16 Depth=2
	v_mov_b32_e32 v26, v24
	v_mov_b32_e32 v27, v1
	s_mov_b32 s44, 0
	s_branch .LBB3_19
	.p2align	6
.LBB3_18:                               ;   in Loop: Header=BB3_19 Depth=3
	v_ashrrev_i32_e32 v11, 31, v10
	v_add_nc_u32_e32 v27, 4, v27
	v_lshlrev_b64 v[10:11], 2, v[10:11]
	v_add_co_u32 v10, vcc_lo, s12, v10
	v_add_co_ci_u32_e64 v11, null, s13, v11, vcc_lo
	v_cmp_le_i32_e32 vcc_lo, s25, v27
	global_load_dword v10, v[10:11], off
	s_or_b32 s44, vcc_lo, s44
	s_waitcnt vmcnt(0)
	ds_write_b32 v26, v10
	v_add_nc_u32_e32 v26, 0x110, v26
	s_andn2_b32 exec_lo, exec_lo, s44
	s_cbranch_execz .LBB3_15
.LBB3_19:                               ;   Parent Loop BB3_13 Depth=1
                                        ;     Parent Loop BB3_16 Depth=2
                                        ; =>    This Inner Loop Header: Depth=3
	s_and_b32 vcc_lo, exec_lo, s29
	s_cbranch_vccz .LBB3_21
; %bb.20:                               ;   in Loop: Header=BB3_19 Depth=3
	v_add_nc_u32_e32 v10, s7, v27
	v_mad_u64_u32 v[10:11], null, v10, s25, v[9:10]
	s_cbranch_execnz .LBB3_18
	s_branch .LBB3_22
	.p2align	6
.LBB3_21:                               ;   in Loop: Header=BB3_19 Depth=3
                                        ; implicit-def: $vgpr10
.LBB3_22:                               ;   in Loop: Header=BB3_19 Depth=3
	v_add_nc_u32_e32 v10, v25, v27
	s_branch .LBB3_18
.LBB3_23:                               ;   in Loop: Header=BB3_13 Depth=1
	s_inst_prefetch 0x2
	s_or_b32 exec_lo, exec_lo, s6
	s_sub_i32 s6, s5, s24
	s_ashr_i32 s7, s6, 31
	s_lshl_b64 s[6:7], s[6:7], 2
	s_add_u32 s44, s14, s6
	s_addc_u32 s45, s15, s7
	global_load_dword v9, v23, s[44:45]
	s_waitcnt vmcnt(0)
	v_cmp_eq_u32_e32 vcc_lo, -1, v9
	v_readfirstlane_b32 s35, v9
	v_cmp_ne_u32_e64 s5, -1, v9
	s_cbranch_vccnz .LBB3_11
; %bb.24:                               ;   in Loop: Header=BB3_13 Depth=1
	s_add_u32 s44, s8, s6
	s_addc_u32 s45, s9, s7
	s_add_u32 s6, s20, s6
	global_load_dword v9, v23, s[44:45] offset:4
	s_addc_u32 s7, s21, s7
	s_waitcnt vmcnt(0)
	v_readfirstlane_b32 s43, v9
.LBB3_25:                               ;   Parent Loop BB3_13 Depth=1
                                        ; =>  This Inner Loop Header: Depth=2
	global_load_dword v9, v23, s[6:7] glc dlc
	s_waitcnt vmcnt(0)
	v_cmp_eq_u32_e32 vcc_lo, 0, v9
	s_cbranch_vccnz .LBB3_25
; %bb.26:                               ;   in Loop: Header=BB3_13 Depth=1
	s_waitcnt lgkmcnt(0)
	buffer_gl1_inv
	buffer_gl0_inv
	s_and_saveexec_b32 s6, s0
	s_cbranch_execz .LBB3_36
; %bb.27:                               ;   in Loop: Header=BB3_13 Depth=1
	s_mul_i32 s7, s35, s25
	v_mov_b32_e32 v25, v15
	v_add_nc_u32_e32 v9, s7, v0
	s_mov_b32 s44, 0
	v_mul_lo_u32 v24, s25, v9
	v_mov_b32_e32 v9, v0
	s_inst_prefetch 0x1
	s_branch .LBB3_29
	.p2align	6
.LBB3_28:                               ;   in Loop: Header=BB3_29 Depth=2
	s_or_b32 exec_lo, exec_lo, s45
	v_add_nc_u32_e32 v9, 16, v9
	v_add_nc_u32_e32 v24, s42, v24
	;; [unrolled: 1-line block ×3, first 2 shown]
	v_cmp_le_i32_e32 vcc_lo, s25, v9
	s_or_b32 s44, vcc_lo, s44
	s_andn2_b32 exec_lo, exec_lo, s44
	s_cbranch_execz .LBB3_36
.LBB3_29:                               ;   Parent Loop BB3_13 Depth=1
                                        ; =>  This Loop Header: Depth=2
                                        ;       Child Loop BB3_32 Depth 3
	s_and_saveexec_b32 s45, s2
	s_cbranch_execz .LBB3_28
; %bb.30:                               ;   in Loop: Header=BB3_29 Depth=2
	v_mov_b32_e32 v26, v25
	v_mov_b32_e32 v27, v1
	s_mov_b32 s46, 0
	s_branch .LBB3_32
	.p2align	6
.LBB3_31:                               ;   in Loop: Header=BB3_32 Depth=3
	v_ashrrev_i32_e32 v11, 31, v10
	v_add_nc_u32_e32 v27, 4, v27
	v_lshlrev_b64 v[10:11], 2, v[10:11]
	v_add_co_u32 v10, vcc_lo, s12, v10
	v_add_co_ci_u32_e64 v11, null, s13, v11, vcc_lo
	v_cmp_le_i32_e32 vcc_lo, s25, v27
	global_load_dword v10, v[10:11], off
	s_or_b32 s46, vcc_lo, s46
	s_waitcnt vmcnt(0)
	ds_write_b32 v26, v10
	v_add_nc_u32_e32 v26, 0x110, v26
	s_andn2_b32 exec_lo, exec_lo, s46
	s_cbranch_execz .LBB3_28
.LBB3_32:                               ;   Parent Loop BB3_13 Depth=1
                                        ;     Parent Loop BB3_29 Depth=2
                                        ; =>    This Inner Loop Header: Depth=3
	s_and_b32 vcc_lo, exec_lo, s29
	s_cbranch_vccz .LBB3_34
; %bb.33:                               ;   in Loop: Header=BB3_32 Depth=3
	v_add_nc_u32_e32 v10, s7, v27
	v_mad_u64_u32 v[10:11], null, v10, s25, v[9:10]
	s_cbranch_execnz .LBB3_31
	s_branch .LBB3_35
	.p2align	6
.LBB3_34:                               ;   in Loop: Header=BB3_32 Depth=3
                                        ; implicit-def: $vgpr10
.LBB3_35:                               ;   in Loop: Header=BB3_32 Depth=3
	v_add_nc_u32_e32 v10, v24, v27
	s_branch .LBB3_31
.LBB3_36:                               ;   in Loop: Header=BB3_13 Depth=1
	s_inst_prefetch 0x2
	s_or_b32 exec_lo, exec_lo, s6
	s_andn2_b32 vcc_lo, exec_lo, s37
	s_waitcnt lgkmcnt(0)
	buffer_gl0_inv
	s_cbranch_vccnz .LBB3_68
; %bb.37:                               ;   in Loop: Header=BB3_13 Depth=1
	s_andn2_b32 vcc_lo, exec_lo, s38
	s_mov_b32 s6, 0
	s_cbranch_vccnz .LBB3_58
; %bb.38:                               ;   in Loop: Header=BB3_13 Depth=1
	v_mov_b32_e32 v9, v21
	v_mov_b32_e32 v10, v20
	;; [unrolled: 1-line block ×4, first 2 shown]
	s_mov_b32 s7, 0
	s_branch .LBB3_41
.LBB3_39:                               ;   in Loop: Header=BB3_41 Depth=2
	s_or_b32 exec_lo, exec_lo, s46
.LBB3_40:                               ;   in Loop: Header=BB3_41 Depth=2
	s_or_b32 exec_lo, exec_lo, s44
	v_add_nc_u32_e32 v24, 0x88, v24
	v_add_nc_u32_e32 v11, 0x90, v11
	;; [unrolled: 1-line block ×4, first 2 shown]
	s_add_i32 s7, s7, 2
	s_mov_b32 s6, s39
	s_cmp_eq_u32 s7, s39
	s_waitcnt lgkmcnt(0)
	buffer_gl0_inv
	s_cbranch_scc1 .LBB3_58
.LBB3_41:                               ;   Parent Loop BB3_13 Depth=1
                                        ; =>  This Loop Header: Depth=2
                                        ;       Child Loop BB3_46 Depth 3
                                        ;         Child Loop BB3_50 Depth 4
                                        ;       Child Loop BB3_53 Depth 3
                                        ;         Child Loop BB3_57 Depth 4
	s_and_saveexec_b32 s6, s1
	s_xor_b32 s6, exec_lo, s6
	s_cbranch_execz .LBB3_43
; %bb.42:                               ;   in Loop: Header=BB3_41 Depth=2
	buffer_gl0_inv
.LBB3_43:                               ;   in Loop: Header=BB3_41 Depth=2
	s_andn2_saveexec_b32 s44, s6
	s_cbranch_execz .LBB3_40
; %bb.44:                               ;   in Loop: Header=BB3_41 Depth=2
	s_mul_i32 s45, s7, 0x44
	s_lshl_b32 s6, s7, 2
	v_add_nc_u32_e32 v26, s7, v14
	s_add_i32 s46, s45, s6
	v_mov_b32_e32 v27, v24
	v_mov_b32_e32 v25, s46
	;; [unrolled: 1-line block ×3, first 2 shown]
	v_cmp_gt_i32_e64 s6, s25, v26
	s_addk_i32 s45, 0x440
	s_mov_b32 s47, 0
	ds_read_b32 v25, v25
	s_branch .LBB3_46
.LBB3_45:                               ;   in Loop: Header=BB3_46 Depth=3
	s_or_b32 exec_lo, exec_lo, s48
	v_add_nc_u32_e32 v28, 16, v28
	v_add_nc_u32_e32 v27, 64, v27
	v_cmp_le_i32_e32 vcc_lo, s25, v28
	s_or_b32 s47, vcc_lo, s47
	s_andn2_b32 exec_lo, exec_lo, s47
	s_cbranch_execz .LBB3_51
.LBB3_46:                               ;   Parent Loop BB3_13 Depth=1
                                        ;     Parent Loop BB3_41 Depth=2
                                        ; =>    This Loop Header: Depth=3
                                        ;         Child Loop BB3_50 Depth 4
	v_lshl_add_u32 v30, v28, 2, s45
	ds_read_b32 v29, v30
	s_waitcnt lgkmcnt(0)
	buffer_gl0_inv
	v_div_scale_f32 v31, null, v25, v25, v29
	v_rcp_f32_e32 v32, v31
	v_fma_f32 v33, -v31, v32, 1.0
	v_fmac_f32_e32 v32, v33, v32
	v_div_scale_f32 v33, vcc_lo, v29, v25, v29
	v_mul_f32_e32 v34, v33, v32
	v_fma_f32 v35, -v31, v34, v33
	v_fmac_f32_e32 v34, v35, v32
	v_fma_f32 v31, -v31, v34, v33
	v_div_fmas_f32 v31, v31, v32, v34
	v_div_fixup_f32 v29, v31, v25, v29
	s_and_saveexec_b32 s48, s3
; %bb.47:                               ;   in Loop: Header=BB3_46 Depth=3
	ds_write_b32 v30, v29
; %bb.48:                               ;   in Loop: Header=BB3_46 Depth=3
	s_or_b32 exec_lo, exec_lo, s48
	s_and_saveexec_b32 s48, s6
	s_cbranch_execz .LBB3_45
; %bb.49:                               ;   in Loop: Header=BB3_46 Depth=3
	v_mov_b32_e32 v30, v11
	v_mov_b32_e32 v31, v27
	;; [unrolled: 1-line block ×3, first 2 shown]
	s_mov_b32 s49, 0
	.p2align	6
.LBB3_50:                               ;   Parent Loop BB3_13 Depth=1
                                        ;     Parent Loop BB3_41 Depth=2
                                        ;       Parent Loop BB3_46 Depth=3
                                        ; =>      This Inner Loop Header: Depth=4
	ds_read_b32 v33, v30
	ds_read_b32 v34, v31
	v_add_nc_u32_e32 v32, 4, v32
	v_add_nc_u32_e32 v30, 0x110, v30
	v_cmp_le_i32_e32 vcc_lo, s25, v32
	s_or_b32 s49, vcc_lo, s49
	s_waitcnt lgkmcnt(0)
	v_fma_f32 v33, -v29, v33, v34
	ds_write_b32 v31, v33
	v_add_nc_u32_e32 v31, 0x110, v31
	s_andn2_b32 exec_lo, exec_lo, s49
	s_cbranch_execnz .LBB3_50
	s_branch .LBB3_45
.LBB3_51:                               ;   in Loop: Header=BB3_41 Depth=2
	s_or_b32 exec_lo, exec_lo, s47
	v_mov_b32_e32 v25, s46
	s_waitcnt lgkmcnt(0)
	buffer_gl0_inv
	v_add3_u32 v26, v14, s7, 1
	v_mov_b32_e32 v27, v9
	v_mov_b32_e32 v28, v0
	ds_read_b32 v25, v25 offset:72
	s_mov_b32 s46, 0
	v_cmp_gt_i32_e64 s6, s25, v26
	s_branch .LBB3_53
.LBB3_52:                               ;   in Loop: Header=BB3_53 Depth=3
	s_or_b32 exec_lo, exec_lo, s47
	v_add_nc_u32_e32 v28, 16, v28
	v_add_nc_u32_e32 v27, 64, v27
	v_cmp_le_i32_e32 vcc_lo, s25, v28
	s_or_b32 s46, vcc_lo, s46
	s_andn2_b32 exec_lo, exec_lo, s46
	s_cbranch_execz .LBB3_39
.LBB3_53:                               ;   Parent Loop BB3_13 Depth=1
                                        ;     Parent Loop BB3_41 Depth=2
                                        ; =>    This Loop Header: Depth=3
                                        ;         Child Loop BB3_57 Depth 4
	v_lshl_add_u32 v30, v28, 2, s45
	ds_read_b32 v29, v30 offset:68
	s_waitcnt lgkmcnt(0)
	buffer_gl0_inv
	v_div_scale_f32 v31, null, v25, v25, v29
	v_rcp_f32_e32 v32, v31
	v_fma_f32 v33, -v31, v32, 1.0
	v_fmac_f32_e32 v32, v33, v32
	v_div_scale_f32 v33, vcc_lo, v29, v25, v29
	v_mul_f32_e32 v34, v33, v32
	v_fma_f32 v35, -v31, v34, v33
	v_fmac_f32_e32 v34, v35, v32
	v_fma_f32 v31, -v31, v34, v33
	v_div_fmas_f32 v31, v31, v32, v34
	v_div_fixup_f32 v29, v31, v25, v29
	s_and_saveexec_b32 s47, s3
; %bb.54:                               ;   in Loop: Header=BB3_53 Depth=3
	ds_write_b32 v30, v29 offset:68
; %bb.55:                               ;   in Loop: Header=BB3_53 Depth=3
	s_or_b32 exec_lo, exec_lo, s47
	s_and_saveexec_b32 s47, s6
	s_cbranch_execz .LBB3_52
; %bb.56:                               ;   in Loop: Header=BB3_53 Depth=3
	v_mov_b32_e32 v30, v27
	v_mov_b32_e32 v31, v10
	;; [unrolled: 1-line block ×3, first 2 shown]
	s_mov_b32 s48, 0
	.p2align	6
.LBB3_57:                               ;   Parent Loop BB3_13 Depth=1
                                        ;     Parent Loop BB3_41 Depth=2
                                        ;       Parent Loop BB3_53 Depth=3
                                        ; =>      This Inner Loop Header: Depth=4
	ds_read_b32 v33, v31
	ds_read_b32 v34, v30
	v_add_nc_u32_e32 v32, 4, v32
	v_add_nc_u32_e32 v31, 0x110, v31
	v_cmp_le_i32_e32 vcc_lo, s25, v32
	s_or_b32 s48, vcc_lo, s48
	s_waitcnt lgkmcnt(0)
	v_fma_f32 v33, -v29, v33, v34
	ds_write_b32 v30, v33
	v_add_nc_u32_e32 v30, 0x110, v30
	s_andn2_b32 exec_lo, exec_lo, s48
	s_cbranch_execnz .LBB3_57
	s_branch .LBB3_52
.LBB3_58:                               ;   in Loop: Header=BB3_13 Depth=1
	s_andn2_b32 vcc_lo, exec_lo, s40
	s_cbranch_vccnz .LBB3_68
; %bb.59:                               ;   in Loop: Header=BB3_13 Depth=1
	s_and_saveexec_b32 s7, s0
	s_cbranch_execz .LBB3_67
; %bb.60:                               ;   in Loop: Header=BB3_13 Depth=1
	s_mul_i32 s44, s6, 0x44
	s_lshl_b32 s45, s6, 2
	v_add_nc_u32_e32 v25, s6, v14
	s_add_i32 s45, s44, s45
	s_addk_i32 s44, 0x440
	v_mov_b32_e32 v9, s45
	s_mov_b32 s45, 0
	ds_read_b32 v24, v9
	v_add_nc_u32_e32 v9, s6, v1
	v_mad_u64_u32 v[9:10], null, 0x44, v9, v[8:9]
	v_mad_u64_u32 v[10:11], null, 0x48, s6, v[7:8]
	v_cmp_gt_i32_e64 s6, s25, v25
	v_mov_b32_e32 v11, v0
	s_branch .LBB3_62
.LBB3_61:                               ;   in Loop: Header=BB3_62 Depth=2
	s_or_b32 exec_lo, exec_lo, s46
	v_add_nc_u32_e32 v11, 16, v11
	v_add_nc_u32_e32 v9, 64, v9
	v_cmp_le_i32_e32 vcc_lo, s25, v11
	s_or_b32 s45, vcc_lo, s45
	s_andn2_b32 exec_lo, exec_lo, s45
	s_cbranch_execz .LBB3_67
.LBB3_62:                               ;   Parent Loop BB3_13 Depth=1
                                        ; =>  This Loop Header: Depth=2
                                        ;       Child Loop BB3_66 Depth 3
	v_lshl_add_u32 v27, v11, 2, s44
	ds_read_b32 v26, v27
	s_waitcnt lgkmcnt(0)
	buffer_gl0_inv
	v_div_scale_f32 v28, null, v24, v24, v26
	v_rcp_f32_e32 v29, v28
	v_fma_f32 v30, -v28, v29, 1.0
	v_fmac_f32_e32 v29, v30, v29
	v_div_scale_f32 v30, vcc_lo, v26, v24, v26
	v_mul_f32_e32 v31, v30, v29
	v_fma_f32 v32, -v28, v31, v30
	v_fmac_f32_e32 v31, v32, v29
	v_fma_f32 v28, -v28, v31, v30
	v_div_fmas_f32 v28, v28, v29, v31
	v_div_fixup_f32 v26, v28, v24, v26
	s_and_saveexec_b32 s46, s3
; %bb.63:                               ;   in Loop: Header=BB3_62 Depth=2
	ds_write_b32 v27, v26
; %bb.64:                               ;   in Loop: Header=BB3_62 Depth=2
	s_or_b32 exec_lo, exec_lo, s46
	s_and_saveexec_b32 s46, s6
	s_cbranch_execz .LBB3_61
; %bb.65:                               ;   in Loop: Header=BB3_62 Depth=2
	v_mov_b32_e32 v27, v10
	v_mov_b32_e32 v28, v9
	;; [unrolled: 1-line block ×3, first 2 shown]
	s_mov_b32 s47, 0
	.p2align	6
.LBB3_66:                               ;   Parent Loop BB3_13 Depth=1
                                        ;     Parent Loop BB3_62 Depth=2
                                        ; =>    This Inner Loop Header: Depth=3
	ds_read_b32 v30, v27
	ds_read_b32 v31, v28
	v_add_nc_u32_e32 v29, 4, v29
	v_add_nc_u32_e32 v27, 0x110, v27
	v_cmp_le_i32_e32 vcc_lo, s25, v29
	s_or_b32 s47, vcc_lo, s47
	s_waitcnt lgkmcnt(0)
	v_fma_f32 v30, -v26, v30, v31
	ds_write_b32 v28, v30
	v_add_nc_u32_e32 v28, 0x110, v28
	s_andn2_b32 exec_lo, exec_lo, s47
	s_cbranch_execnz .LBB3_66
	s_branch .LBB3_61
.LBB3_67:                               ;   in Loop: Header=BB3_13 Depth=1
	s_or_b32 exec_lo, exec_lo, s7
	s_waitcnt lgkmcnt(0)
	buffer_gl0_inv
.LBB3_68:                               ;   in Loop: Header=BB3_13 Depth=1
	s_and_saveexec_b32 s7, s0
	s_cbranch_execz .LBB3_78
; %bb.69:                               ;   in Loop: Header=BB3_13 Depth=1
	v_mov_b32_e32 v24, v18
	v_mov_b32_e32 v25, v16
	;; [unrolled: 1-line block ×3, first 2 shown]
	s_mul_i32 s44, s34, s25
	s_mov_b32 s45, 0
	s_inst_prefetch 0x1
	s_branch .LBB3_71
	.p2align	6
.LBB3_70:                               ;   in Loop: Header=BB3_71 Depth=2
	s_or_b32 exec_lo, exec_lo, s46
	v_add_nc_u32_e32 v9, 16, v9
	v_add_nc_u32_e32 v25, s42, v25
	;; [unrolled: 1-line block ×3, first 2 shown]
	v_cmp_le_i32_e32 vcc_lo, s25, v9
	s_or_b32 s45, vcc_lo, s45
	s_andn2_b32 exec_lo, exec_lo, s45
	s_cbranch_execz .LBB3_78
.LBB3_71:                               ;   Parent Loop BB3_13 Depth=1
                                        ; =>  This Loop Header: Depth=2
                                        ;       Child Loop BB3_74 Depth 3
	s_and_saveexec_b32 s46, s2
	s_cbranch_execz .LBB3_70
; %bb.72:                               ;   in Loop: Header=BB3_71 Depth=2
	v_mov_b32_e32 v26, v24
	v_mov_b32_e32 v27, v1
	s_mov_b32 s47, 0
	s_branch .LBB3_74
	.p2align	6
.LBB3_73:                               ;   in Loop: Header=BB3_74 Depth=3
	v_ashrrev_i32_e32 v11, 31, v10
	v_add_nc_u32_e32 v27, 4, v27
	v_add_nc_u32_e32 v26, 0x110, v26
	v_lshlrev_b64 v[10:11], 2, v[10:11]
	v_cmp_le_i32_e32 vcc_lo, s25, v27
	s_or_b32 s47, vcc_lo, s47
	v_add_co_u32 v10, s6, s12, v10
	v_add_co_ci_u32_e64 v11, null, s13, v11, s6
	s_waitcnt lgkmcnt(0)
	global_store_dword v[10:11], v28, off
	s_andn2_b32 exec_lo, exec_lo, s47
	s_cbranch_execz .LBB3_70
.LBB3_74:                               ;   Parent Loop BB3_13 Depth=1
                                        ;     Parent Loop BB3_71 Depth=2
                                        ; =>    This Inner Loop Header: Depth=3
	ds_read_b32 v28, v26
	s_and_b32 vcc_lo, exec_lo, s29
	s_cbranch_vccz .LBB3_76
; %bb.75:                               ;   in Loop: Header=BB3_74 Depth=3
	v_add_nc_u32_e32 v10, s44, v27
	v_mad_u64_u32 v[10:11], null, v10, s25, v[9:10]
	s_cbranch_execnz .LBB3_73
	s_branch .LBB3_77
	.p2align	6
.LBB3_76:                               ;   in Loop: Header=BB3_74 Depth=3
                                        ; implicit-def: $vgpr10
.LBB3_77:                               ;   in Loop: Header=BB3_74 Depth=3
	v_add_nc_u32_e32 v10, v25, v27
	s_branch .LBB3_73
.LBB3_78:                               ;   in Loop: Header=BB3_13 Depth=1
	s_inst_prefetch 0x2
	s_or_b32 exec_lo, exec_lo, s7
	s_sub_i32 s43, s43, s24
	s_add_i32 s6, s35, 1
	s_cmp_ge_i32 s6, s43
	s_cbranch_scc1 .LBB3_12
; %bb.79:                               ;   in Loop: Header=BB3_13 Depth=1
	v_mad_u64_u32 v[9:10], null, s25, s6, v[0:1]
	v_mul_lo_u32 v24, s25, v9
	s_branch .LBB3_83
.LBB3_80:                               ;   in Loop: Header=BB3_83 Depth=2
	s_or_b32 exec_lo, exec_lo, s35
.LBB3_81:                               ;   in Loop: Header=BB3_83 Depth=2
	s_or_b32 exec_lo, exec_lo, s7
.LBB3_82:                               ;   in Loop: Header=BB3_83 Depth=2
	v_add_nc_u32_e32 v24, s41, v24
	s_add_i32 s6, s6, 1
	s_waitcnt lgkmcnt(0)
	s_waitcnt_vscnt null, 0x0
	buffer_gl0_inv
	s_cmp_lt_i32 s6, s43
	s_cbranch_scc0 .LBB3_12
.LBB3_83:                               ;   Parent Loop BB3_13 Depth=1
                                        ; =>  This Loop Header: Depth=2
                                        ;       Child Loop BB3_88 Depth 3
                                        ;       Child Loop BB3_97 Depth 3
                                        ;         Child Loop BB3_100 Depth 4
                                        ;       Child Loop BB3_106 Depth 3
                                        ;         Child Loop BB3_109 Depth 4
                                        ;           Child Loop BB3_110 Depth 5
	s_ashr_i32 s7, s6, 31
	v_mov_b32_e32 v10, s31
	s_lshl_b64 s[44:45], s[6:7], 2
	s_add_u32 s44, s10, s44
	s_addc_u32 s45, s11, s45
	global_load_dword v9, v23, s[44:45]
	s_and_saveexec_b32 s7, s4
	s_cbranch_execz .LBB3_85
; %bb.84:                               ;   in Loop: Header=BB3_83 Depth=2
	global_load_dword v10, v[5:6], off
	s_waitcnt vmcnt(0)
	v_subrev_nc_u32_e32 v10, s24, v10
.LBB3_85:                               ;   in Loop: Header=BB3_83 Depth=2
	s_or_b32 exec_lo, exec_lo, s7
	s_waitcnt vmcnt(0)
	v_subrev_nc_u32_e32 v11, s24, v9
	v_mov_b32_e32 v25, v4
	s_mov_b32 s7, exec_lo
	v_cmpx_lt_i32_e64 v10, v11
	s_cbranch_execz .LBB3_91
; %bb.86:                               ;   in Loop: Header=BB3_83 Depth=2
	v_mov_b32_e32 v9, v4
	s_mov_b32 s35, 0
	s_branch .LBB3_88
	.p2align	6
.LBB3_87:                               ;   in Loop: Header=BB3_88 Depth=3
	s_or_b32 exec_lo, exec_lo, s44
	v_cmp_ge_i32_e32 vcc_lo, v10, v11
	v_mov_b32_e32 v9, v25
	s_or_b32 s35, vcc_lo, s35
	s_andn2_b32 exec_lo, exec_lo, s35
	s_cbranch_execz .LBB3_90
.LBB3_88:                               ;   Parent Loop BB3_13 Depth=1
                                        ;     Parent Loop BB3_83 Depth=2
                                        ; =>    This Inner Loop Header: Depth=3
	v_add_nc_u32_e32 v25, 64, v9
	v_mov_b32_e32 v10, s31
	s_mov_b32 s44, exec_lo
	v_cmpx_gt_i32_e64 s33, v25
	s_cbranch_execz .LBB3_87
; %bb.89:                               ;   in Loop: Header=BB3_88 Depth=3
	v_ashrrev_i32_e32 v10, 31, v9
	v_lshlrev_b64 v[9:10], 2, v[9:10]
	v_add_co_u32 v9, vcc_lo, s10, v9
	v_add_co_ci_u32_e64 v10, null, s11, v10, vcc_lo
	global_load_dword v9, v[9:10], off offset:256
	s_waitcnt vmcnt(0)
	v_subrev_nc_u32_e32 v10, s24, v9
	s_branch .LBB3_87
.LBB3_90:                               ;   in Loop: Header=BB3_83 Depth=2
	s_or_b32 exec_lo, exec_lo, s35
.LBB3_91:                               ;   in Loop: Header=BB3_83 Depth=2
	s_or_b32 exec_lo, exec_lo, s7
	v_cmp_eq_u32_e32 vcc_lo, v10, v11
	s_cbranch_vccz .LBB3_82
; %bb.92:                               ;   in Loop: Header=BB3_83 Depth=2
	s_ff1_i32_b32 s7, vcc_lo
	s_lshl_b32 s7, s7, 2
	v_mov_b32_e32 v9, s7
	ds_bpermute_b32 v25, v9, v25
	s_and_saveexec_b32 s7, s1
	s_xor_b32 s7, exec_lo, s7
	s_cbranch_execz .LBB3_94
; %bb.93:                               ;   in Loop: Header=BB3_83 Depth=2
	s_waitcnt lgkmcnt(0)
	s_waitcnt_vscnt null, 0x0
	buffer_gl0_inv
                                        ; implicit-def: $vgpr25
.LBB3_94:                               ;   in Loop: Header=BB3_83 Depth=2
	s_andn2_saveexec_b32 s7, s7
	s_cbranch_execz .LBB3_81
; %bb.95:                               ;   in Loop: Header=BB3_83 Depth=2
	v_mov_b32_e32 v26, v15
	v_mov_b32_e32 v27, v24
	;; [unrolled: 1-line block ×3, first 2 shown]
	s_mul_i32 s44, s6, s25
	s_mov_b32 s35, 0
	s_inst_prefetch 0x1
	s_branch .LBB3_97
	.p2align	6
.LBB3_96:                               ;   in Loop: Header=BB3_97 Depth=3
	s_or_b32 exec_lo, exec_lo, s45
	v_add_nc_u32_e32 v9, 16, v9
	v_add_nc_u32_e32 v27, s42, v27
	;; [unrolled: 1-line block ×3, first 2 shown]
	v_cmp_le_i32_e32 vcc_lo, s25, v9
	s_or_b32 s35, vcc_lo, s35
	s_andn2_b32 exec_lo, exec_lo, s35
	s_cbranch_execz .LBB3_104
.LBB3_97:                               ;   Parent Loop BB3_13 Depth=1
                                        ;     Parent Loop BB3_83 Depth=2
                                        ; =>    This Loop Header: Depth=3
                                        ;         Child Loop BB3_100 Depth 4
	s_and_saveexec_b32 s45, s2
	s_cbranch_execz .LBB3_96
; %bb.98:                               ;   in Loop: Header=BB3_97 Depth=3
	v_mov_b32_e32 v28, v26
	v_mov_b32_e32 v29, v1
	s_mov_b32 s46, 0
	s_branch .LBB3_100
	.p2align	6
.LBB3_99:                               ;   in Loop: Header=BB3_100 Depth=4
	v_ashrrev_i32_e32 v11, 31, v10
	v_add_nc_u32_e32 v29, 4, v29
	v_lshlrev_b64 v[10:11], 2, v[10:11]
	v_add_co_u32 v10, vcc_lo, s12, v10
	v_add_co_ci_u32_e64 v11, null, s13, v11, vcc_lo
	v_cmp_le_i32_e32 vcc_lo, s25, v29
	global_load_dword v10, v[10:11], off
	s_or_b32 s46, vcc_lo, s46
	s_waitcnt vmcnt(0)
	ds_write_b32 v28, v10
	v_add_nc_u32_e32 v28, 0x110, v28
	s_andn2_b32 exec_lo, exec_lo, s46
	s_cbranch_execz .LBB3_96
.LBB3_100:                              ;   Parent Loop BB3_13 Depth=1
                                        ;     Parent Loop BB3_83 Depth=2
                                        ;       Parent Loop BB3_97 Depth=3
                                        ; =>      This Inner Loop Header: Depth=4
	s_and_b32 vcc_lo, exec_lo, s29
	s_cbranch_vccz .LBB3_102
; %bb.101:                              ;   in Loop: Header=BB3_100 Depth=4
	v_add_nc_u32_e32 v10, s44, v29
	v_mad_u64_u32 v[10:11], null, v10, s25, v[9:10]
	s_cbranch_execnz .LBB3_99
	s_branch .LBB3_103
	.p2align	6
.LBB3_102:                              ;   in Loop: Header=BB3_100 Depth=4
                                        ; implicit-def: $vgpr10
.LBB3_103:                              ;   in Loop: Header=BB3_100 Depth=4
	v_add_nc_u32_e32 v10, v27, v29
	s_branch .LBB3_99
.LBB3_104:                              ;   in Loop: Header=BB3_83 Depth=2
	s_inst_prefetch 0x2
	s_or_b32 exec_lo, exec_lo, s35
	s_waitcnt lgkmcnt(0)
	v_mul_lo_u32 v25, v25, s25
	v_mov_b32_e32 v26, v22
	v_mov_b32_e32 v9, v0
	s_mov_b32 s35, 0
	s_waitcnt_vscnt null, 0x0
	buffer_gl0_inv
	s_branch .LBB3_106
.LBB3_105:                              ;   in Loop: Header=BB3_106 Depth=3
	s_inst_prefetch 0x2
	s_or_b32 exec_lo, exec_lo, s44
	v_add_nc_u32_e32 v9, 16, v9
	v_add_nc_u32_e32 v26, 64, v26
	v_cmp_le_i32_e32 vcc_lo, s25, v9
	s_or_b32 s35, vcc_lo, s35
	s_andn2_b32 exec_lo, exec_lo, s35
	s_cbranch_execz .LBB3_80
.LBB3_106:                              ;   Parent Loop BB3_13 Depth=1
                                        ;     Parent Loop BB3_83 Depth=2
                                        ; =>    This Loop Header: Depth=3
                                        ;         Child Loop BB3_109 Depth 4
                                        ;           Child Loop BB3_110 Depth 5
	s_and_saveexec_b32 s44, s2
	s_cbranch_execz .LBB3_105
; %bb.107:                              ;   in Loop: Header=BB3_106 Depth=3
	v_add_nc_u32_e32 v10, v9, v25
	v_mov_b32_e32 v28, v17
	v_mov_b32_e32 v29, v1
	s_mov_b32 s45, 0
	v_mul_lo_u32 v27, v10, s25
	s_inst_prefetch 0x1
	s_branch .LBB3_109
	.p2align	6
.LBB3_108:                              ;   in Loop: Header=BB3_109 Depth=4
	v_ashrrev_i32_e32 v11, 31, v10
	v_add_nc_u32_e32 v29, 4, v29
	v_add_nc_u32_e32 v28, 0x110, v28
	v_lshlrev_b64 v[10:11], 2, v[10:11]
	v_add_co_u32 v10, vcc_lo, s12, v10
	v_add_co_ci_u32_e64 v11, null, s13, v11, vcc_lo
	v_cmp_le_i32_e32 vcc_lo, s25, v29
	global_load_dword v31, v[10:11], off
	s_or_b32 s45, vcc_lo, s45
	s_waitcnt vmcnt(0)
	v_sub_f32_e32 v30, v31, v30
	global_store_dword v[10:11], v30, off
	s_andn2_b32 exec_lo, exec_lo, s45
	s_cbranch_execz .LBB3_105
.LBB3_109:                              ;   Parent Loop BB3_13 Depth=1
                                        ;     Parent Loop BB3_83 Depth=2
                                        ;       Parent Loop BB3_106 Depth=3
                                        ; =>      This Loop Header: Depth=4
                                        ;           Child Loop BB3_110 Depth 5
	v_mov_b32_e32 v30, 0
	v_mov_b32_e32 v10, v26
	;; [unrolled: 1-line block ×3, first 2 shown]
	s_mov_b32 s46, s25
.LBB3_110:                              ;   Parent Loop BB3_13 Depth=1
                                        ;     Parent Loop BB3_83 Depth=2
                                        ;       Parent Loop BB3_106 Depth=3
                                        ;         Parent Loop BB3_109 Depth=4
                                        ; =>        This Inner Loop Header: Depth=5
	ds_read_b32 v31, v10
	ds_read_b32 v32, v11
	v_add_nc_u32_e32 v11, 4, v11
	v_add_nc_u32_e32 v10, 0x44, v10
	s_add_i32 s46, s46, -1
	s_cmp_eq_u32 s46, 0
	s_waitcnt lgkmcnt(0)
	v_fmac_f32_e32 v30, v31, v32
	s_cbranch_scc0 .LBB3_110
; %bb.111:                              ;   in Loop: Header=BB3_109 Depth=4
	s_and_b32 vcc_lo, exec_lo, s29
	s_cbranch_vccz .LBB3_113
; %bb.112:                              ;   in Loop: Header=BB3_109 Depth=4
	v_add_nc_u32_e32 v10, v29, v25
	v_mad_u64_u32 v[10:11], null, v10, s25, v[9:10]
	s_cbranch_execnz .LBB3_108
	s_branch .LBB3_114
.LBB3_113:                              ;   in Loop: Header=BB3_109 Depth=4
                                        ; implicit-def: $vgpr10
.LBB3_114:                              ;   in Loop: Header=BB3_109 Depth=4
	v_add_nc_u32_e32 v10, v29, v27
	s_branch .LBB3_108
.LBB3_115:
	s_ashr_i32 s29, s28, 31
	v_mov_b32_e32 v4, 0
	s_lshl_b64 s[0:1], s[28:29], 2
	s_add_u32 s0, s10, s0
	s_addc_u32 s1, s11, s1
	global_load_dword v4, v4, s[0:1]
	s_waitcnt vmcnt(0)
	v_subrev_nc_u32_e32 v4, s24, v4
	v_cmp_ne_u32_e32 vcc_lo, s22, v4
	s_cbranch_vccnz .LBB3_160
; %bb.116:
	v_cmp_gt_i32_e64 s0, s25, v0
	s_and_saveexec_b32 s2, s0
	s_cbranch_execz .LBB3_127
; %bb.117:
	s_mul_i32 s3, s28, s25
	v_lshlrev_b32_e32 v5, 2, v0
	v_add_nc_u32_e32 v4, s3, v0
	v_cmp_gt_u32_e64 s1, s25, v1
	s_cmp_lg_u32 s30, 0
	s_mov_b32 s4, 0
	v_mad_u32_u24 v8, 0x44, v1, v5
	v_mul_lo_u32 v7, s25, v4
	v_mov_b32_e32 v4, v0
	s_cselect_b32 s5, -1, 0
	s_lshl_b32 s6, s25, 4
	s_inst_prefetch 0x1
	s_branch .LBB3_119
	.p2align	6
.LBB3_118:                              ;   in Loop: Header=BB3_119 Depth=1
	s_or_b32 exec_lo, exec_lo, s7
	v_add_nc_u32_e32 v4, 16, v4
	v_add_nc_u32_e32 v7, s6, v7
	;; [unrolled: 1-line block ×3, first 2 shown]
	v_cmp_le_i32_e32 vcc_lo, s25, v4
	s_or_b32 s4, vcc_lo, s4
	s_andn2_b32 exec_lo, exec_lo, s4
	s_cbranch_execz .LBB3_127
.LBB3_119:                              ; =>This Loop Header: Depth=1
                                        ;     Child Loop BB3_122 Depth 2
	s_and_saveexec_b32 s7, s1
	s_cbranch_execz .LBB3_118
; %bb.120:                              ;   in Loop: Header=BB3_119 Depth=1
	v_mov_b32_e32 v9, v8
	v_mov_b32_e32 v10, v1
	s_mov_b32 s8, 0
	s_branch .LBB3_122
	.p2align	6
.LBB3_121:                              ;   in Loop: Header=BB3_122 Depth=2
	v_ashrrev_i32_e32 v6, 31, v5
	v_add_nc_u32_e32 v10, 4, v10
	v_lshlrev_b64 v[5:6], 2, v[5:6]
	v_add_co_u32 v5, vcc_lo, s12, v5
	v_add_co_ci_u32_e64 v6, null, s13, v6, vcc_lo
	v_cmp_le_i32_e32 vcc_lo, s25, v10
	global_load_dword v5, v[5:6], off
	s_or_b32 s8, vcc_lo, s8
	s_waitcnt vmcnt(0)
	ds_write_b32 v9, v5
	v_add_nc_u32_e32 v9, 0x110, v9
	s_andn2_b32 exec_lo, exec_lo, s8
	s_cbranch_execz .LBB3_118
.LBB3_122:                              ;   Parent Loop BB3_119 Depth=1
                                        ; =>  This Inner Loop Header: Depth=2
	s_and_b32 vcc_lo, exec_lo, s5
	s_cbranch_vccz .LBB3_124
; %bb.123:                              ;   in Loop: Header=BB3_122 Depth=2
	v_add_nc_u32_e32 v5, s3, v10
	v_mad_u64_u32 v[5:6], null, v5, s25, v[4:5]
	s_cbranch_execnz .LBB3_121
	s_branch .LBB3_125
	.p2align	6
.LBB3_124:                              ;   in Loop: Header=BB3_122 Depth=2
                                        ; implicit-def: $vgpr5
.LBB3_125:                              ;   in Loop: Header=BB3_122 Depth=2
	v_add_nc_u32_e32 v5, v7, v10
	s_branch .LBB3_121
.LBB3_126:
	s_mov_b32 s23, -1
	s_branch .LBB3_212
.LBB3_127:
	s_inst_prefetch 0x2
	s_or_b32 exec_lo, exec_lo, s2
	s_cmp_lt_i32 s25, 1
	s_waitcnt lgkmcnt(0)
	s_waitcnt_vscnt null, 0x0
	buffer_gl0_inv
	s_cbranch_scc1 .LBB3_149
; %bb.128:
	v_cvt_f64_f32_e32 v[6:7], v13
	v_or_b32_e32 v5, v0, v1
	v_mul_u32_u24_e32 v8, 0x44, v1
	v_lshlrev_b32_e32 v9, 2, v0
	s_cmp_eq_u64 s[16:17], 8
	v_cmp_eq_u32_e64 s1, 0, v1
	s_cselect_b32 vcc_lo, -1, 0
	v_mad_u32_u24 v4, 0x44, v1, 0x44
	v_cmp_eq_u32_e64 s2, 0, v5
	v_add3_u32 v5, v8, v9, 0x48
	s_mov_b32 s4, 0
	v_cndmask_b32_e32 v3, v7, v3, vcc_lo
	v_cndmask_b32_e32 v2, v6, v2, vcc_lo
.LBB3_129:                              ; =>This Loop Header: Depth=1
                                        ;     Child Loop BB3_141 Depth 2
                                        ;       Child Loop BB3_145 Depth 3
	s_mul_i32 s5, s4, 0x44
	s_lshl_b32 s3, s4, 2
	s_mov_b32 s7, -1
	s_add_i32 s6, s5, s3
	s_andn2_b32 vcc_lo, exec_lo, s36
	v_mov_b32_e32 v6, s6
	s_mov_b32 s3, 0
	s_waitcnt lgkmcnt(0)
	ds_read_b32 v7, v6
                                        ; implicit-def: $vgpr6
	s_cbranch_vccz .LBB3_134
; %bb.130:                              ;   in Loop: Header=BB3_129 Depth=1
	s_andn2_b32 vcc_lo, exec_lo, s7
	s_mov_b32 s7, 0
	s_cbranch_vccz .LBB3_137
.LBB3_131:                              ;   in Loop: Header=BB3_129 Depth=1
	s_andn2_b32 vcc_lo, exec_lo, s3
                                        ; implicit-def: $sgpr6
	s_cbranch_vccz .LBB3_138
.LBB3_132:                              ;   in Loop: Header=BB3_129 Depth=1
	s_andn2_b32 vcc_lo, exec_lo, s7
	s_cbranch_vccz .LBB3_147
.LBB3_133:                              ;   in Loop: Header=BB3_129 Depth=1
	v_add_nc_u32_e32 v5, 0x48, v5
	v_add_nc_u32_e32 v4, 0x48, v4
	s_cmp_eq_u32 s6, s25
	s_cbranch_scc0 .LBB3_148
	s_branch .LBB3_149
.LBB3_134:                              ;   in Loop: Header=BB3_129 Depth=1
	s_waitcnt lgkmcnt(0)
	v_cmp_gt_f32_e32 vcc_lo, 0, v7
	buffer_gl0_inv
	v_cndmask_b32_e64 v6, v7, -v7, vcc_lo
	v_cvt_f64_f32_e32 v[8:9], v6
	v_cmp_ge_f64_e32 vcc_lo, v[2:3], v[8:9]
	v_cndmask_b32_e32 v6, v7, v12, vcc_lo
	s_and_saveexec_b32 s3, s2
; %bb.135:                              ;   in Loop: Header=BB3_129 Depth=1
	v_mov_b32_e32 v8, s6
	ds_write_b32 v8, v6
; %bb.136:                              ;   in Loop: Header=BB3_129 Depth=1
	s_or_b32 exec_lo, exec_lo, s3
	s_mov_b32 s3, -1
	s_mov_b32 s7, 0
	s_cbranch_execnz .LBB3_131
.LBB3_137:                              ;   in Loop: Header=BB3_129 Depth=1
	s_waitcnt lgkmcnt(0)
	v_cmp_neq_f32_e64 s3, 0, v7
	v_mov_b32_e32 v6, v7
	s_mov_b32 s7, -1
	s_andn2_b32 vcc_lo, exec_lo, s3
                                        ; implicit-def: $sgpr6
	s_cbranch_vccnz .LBB3_132
.LBB3_138:                              ;   in Loop: Header=BB3_129 Depth=1
	s_add_i32 s6, s4, 1
	s_mov_b32 s7, exec_lo
	s_waitcnt lgkmcnt(0)
	v_add_nc_u32_e32 v7, s6, v0
	v_cmpx_gt_i32_e64 s25, v7
	s_cbranch_execz .LBB3_146
; %bb.139:                              ;   in Loop: Header=BB3_129 Depth=1
	v_add_nc_u32_e32 v8, s6, v1
	v_mov_b32_e32 v9, v5
	s_mov_b32 s8, 0
	v_cmp_gt_i32_e64 s3, s25, v8
	s_branch .LBB3_141
.LBB3_140:                              ;   in Loop: Header=BB3_141 Depth=2
	s_or_b32 exec_lo, exec_lo, s9
	v_add_nc_u32_e32 v7, 16, v7
	v_add_nc_u32_e32 v9, 64, v9
	v_cmp_le_i32_e32 vcc_lo, s25, v7
	s_or_b32 s8, vcc_lo, s8
	s_andn2_b32 exec_lo, exec_lo, s8
	s_cbranch_execz .LBB3_146
.LBB3_141:                              ;   Parent Loop BB3_129 Depth=1
                                        ; =>  This Loop Header: Depth=2
                                        ;       Child Loop BB3_145 Depth 3
	v_lshl_add_u32 v11, v7, 2, s5
	ds_read_b32 v10, v11
	s_waitcnt lgkmcnt(0)
	buffer_gl0_inv
	v_div_scale_f32 v13, null, v6, v6, v10
	v_rcp_f32_e32 v14, v13
	v_fma_f32 v15, -v13, v14, 1.0
	v_fmac_f32_e32 v14, v15, v14
	v_div_scale_f32 v15, vcc_lo, v10, v6, v10
	v_mul_f32_e32 v16, v15, v14
	v_fma_f32 v17, -v13, v16, v15
	v_fmac_f32_e32 v16, v17, v14
	v_fma_f32 v13, -v13, v16, v15
	v_div_fmas_f32 v13, v13, v14, v16
	v_div_fixup_f32 v10, v13, v6, v10
	s_and_saveexec_b32 s9, s1
; %bb.142:                              ;   in Loop: Header=BB3_141 Depth=2
	ds_write_b32 v11, v10
; %bb.143:                              ;   in Loop: Header=BB3_141 Depth=2
	s_or_b32 exec_lo, exec_lo, s9
	s_and_saveexec_b32 s9, s3
	s_cbranch_execz .LBB3_140
; %bb.144:                              ;   in Loop: Header=BB3_141 Depth=2
	v_mov_b32_e32 v11, v4
	v_mov_b32_e32 v13, v9
	;; [unrolled: 1-line block ×3, first 2 shown]
	s_mov_b32 s10, 0
	.p2align	6
.LBB3_145:                              ;   Parent Loop BB3_129 Depth=1
                                        ;     Parent Loop BB3_141 Depth=2
                                        ; =>    This Inner Loop Header: Depth=3
	ds_read_b32 v15, v11
	ds_read_b32 v16, v13
	v_add_nc_u32_e32 v14, 4, v14
	v_add_nc_u32_e32 v11, 0x110, v11
	v_cmp_le_i32_e32 vcc_lo, s25, v14
	s_or_b32 s10, vcc_lo, s10
	s_waitcnt lgkmcnt(0)
	v_fma_f32 v15, -v10, v15, v16
	ds_write_b32 v13, v15
	v_add_nc_u32_e32 v13, 0x110, v13
	s_andn2_b32 exec_lo, exec_lo, s10
	s_cbranch_execnz .LBB3_145
	s_branch .LBB3_140
.LBB3_146:                              ;   in Loop: Header=BB3_129 Depth=1
	s_or_b32 exec_lo, exec_lo, s7
	s_cbranch_execnz .LBB3_133
.LBB3_147:                              ;   in Loop: Header=BB3_129 Depth=1
	s_add_i32 s6, s4, 1
	s_mov_b32 s23, -1
	v_add_nc_u32_e32 v5, 0x48, v5
	v_add_nc_u32_e32 v4, 0x48, v4
	s_cmp_eq_u32 s6, s25
	s_cbranch_scc1 .LBB3_149
.LBB3_148:                              ;   in Loop: Header=BB3_129 Depth=1
	s_mov_b32 s4, s6
	s_branch .LBB3_129
.LBB3_149:
	s_waitcnt lgkmcnt(0)
	buffer_gl0_inv
	s_and_saveexec_b32 s2, s0
	s_cbranch_execz .LBB3_159
; %bb.150:
	s_mul_i32 s3, s28, s25
	v_lshlrev_b32_e32 v3, 2, v0
	v_add_nc_u32_e32 v2, s3, v0
	v_cmp_gt_u32_e64 s0, s25, v1
	s_cmp_lg_u32 s30, 0
	s_mov_b32 s4, 0
	v_mad_u32_u24 v6, 0x44, v1, v3
	v_mul_lo_u32 v5, s25, v2
	v_mov_b32_e32 v2, v0
	s_cselect_b32 s5, -1, 0
	s_lshl_b32 s6, s25, 4
	s_inst_prefetch 0x1
	s_branch .LBB3_152
	.p2align	6
.LBB3_151:                              ;   in Loop: Header=BB3_152 Depth=1
	s_or_b32 exec_lo, exec_lo, s7
	v_add_nc_u32_e32 v2, 16, v2
	v_add_nc_u32_e32 v5, s6, v5
	;; [unrolled: 1-line block ×3, first 2 shown]
	v_cmp_le_i32_e32 vcc_lo, s25, v2
	s_or_b32 s4, vcc_lo, s4
	s_andn2_b32 exec_lo, exec_lo, s4
	s_cbranch_execz .LBB3_159
.LBB3_152:                              ; =>This Loop Header: Depth=1
                                        ;     Child Loop BB3_155 Depth 2
	s_and_saveexec_b32 s7, s0
	s_cbranch_execz .LBB3_151
; %bb.153:                              ;   in Loop: Header=BB3_152 Depth=1
	v_mov_b32_e32 v7, v6
	v_mov_b32_e32 v8, v1
	s_mov_b32 s8, 0
	s_branch .LBB3_155
	.p2align	6
.LBB3_154:                              ;   in Loop: Header=BB3_155 Depth=2
	v_ashrrev_i32_e32 v4, 31, v3
	v_add_nc_u32_e32 v8, 4, v8
	v_add_nc_u32_e32 v7, 0x110, v7
	v_lshlrev_b64 v[3:4], 2, v[3:4]
	v_cmp_le_i32_e32 vcc_lo, s25, v8
	s_or_b32 s8, vcc_lo, s8
	v_add_co_u32 v3, s1, s12, v3
	v_add_co_ci_u32_e64 v4, null, s13, v4, s1
	s_waitcnt lgkmcnt(0)
	global_store_dword v[3:4], v9, off
	s_andn2_b32 exec_lo, exec_lo, s8
	s_cbranch_execz .LBB3_151
.LBB3_155:                              ;   Parent Loop BB3_152 Depth=1
                                        ; =>  This Inner Loop Header: Depth=2
	ds_read_b32 v9, v7
	s_and_b32 vcc_lo, exec_lo, s5
	s_cbranch_vccz .LBB3_157
; %bb.156:                              ;   in Loop: Header=BB3_155 Depth=2
	v_add_nc_u32_e32 v3, s3, v8
	v_mad_u64_u32 v[3:4], null, v3, s25, v[2:3]
	s_cbranch_execnz .LBB3_154
	s_branch .LBB3_158
	.p2align	6
.LBB3_157:                              ;   in Loop: Header=BB3_155 Depth=2
                                        ; implicit-def: $vgpr3
.LBB3_158:                              ;   in Loop: Header=BB3_155 Depth=2
	v_add_nc_u32_e32 v3, v5, v8
	s_branch .LBB3_154
.LBB3_159:
	s_inst_prefetch 0x2
	s_or_b32 exec_lo, exec_lo, s2
.LBB3_160:
	s_add_i32 s4, s28, 1
	s_cmp_ge_i32 s4, s33
	s_cbranch_scc1 .LBB3_212
; %bb.161:
	v_mad_u64_u32 v[2:3], null, s25, s4, v[0:1]
	v_lshlrev_b32_e32 v3, 2, v1
	s_cmp_lg_u32 s30, 0
	v_mul_u32_u24_e32 v4, 0x44, v1
	s_cselect_b32 s5, -1, 0
	s_cmp_gt_i32 s25, 0
	v_lshlrev_b32_e32 v5, 2, v0
	s_cselect_b32 s6, -1, 0
	s_cmp_lg_u32 s25, 1
	v_mad_u32_u24 v11, 0x44, v0, v3
	s_cselect_b32 s7, -1, 0
	s_and_b32 s8, s25, 0x7ffffffe
	s_bitcmp1_b32 s25, 0
	s_movk_i32 s3, 0x444
	v_cmp_gt_i32_e64 s0, s25, v0
	v_cmp_le_i32_e64 s1, s25, v0
	v_cmp_gt_i32_e64 s2, s25, v1
	v_add_nc_u32_e32 v6, 1, v1
	v_mul_lo_u32 v7, s25, v2
	v_add3_u32 v8, v4, v5, 0x440
	v_add_nc_u32_e32 v9, 0x444, v11
	v_add_nc_u32_e32 v2, 4, v3
	;; [unrolled: 1-line block ×4, first 2 shown]
	v_mad_u32_u24 v12, 0x44, v0, s3
	s_cselect_b32 s9, -1, 0
	s_mul_i32 s10, s25, s25
	s_lshl_b32 s11, s25, 4
	s_branch .LBB3_164
.LBB3_162:                              ;   in Loop: Header=BB3_164 Depth=1
	s_inst_prefetch 0x2
	s_or_b32 exec_lo, exec_lo, s15
.LBB3_163:                              ;   in Loop: Header=BB3_164 Depth=1
	s_or_b32 exec_lo, exec_lo, s14
	v_add_nc_u32_e32 v7, s10, v7
	s_add_i32 s4, s4, 1
	s_cmp_ge_i32 s4, s33
	s_cbranch_scc1 .LBB3_212
.LBB3_164:                              ; =>This Loop Header: Depth=1
                                        ;     Child Loop BB3_167 Depth 2
                                        ;       Child Loop BB3_170 Depth 3
                                        ;     Child Loop BB3_178 Depth 2
                                        ;       Child Loop BB3_181 Depth 3
                                        ;         Child Loop BB3_183 Depth 4
                                        ;       Child Loop BB3_186 Depth 3
                                        ;         Child Loop BB3_188 Depth 4
                                        ;     Child Loop BB3_195 Depth 2
                                        ;       Child Loop BB3_197 Depth 3
                                        ;     Child Loop BB3_205 Depth 2
                                        ;       Child Loop BB3_208 Depth 3
	s_waitcnt lgkmcnt(0)
	s_waitcnt_vscnt null, 0x0
	buffer_gl0_inv
	s_and_saveexec_b32 s3, s0
	s_cbranch_execz .LBB3_174
; %bb.165:                              ;   in Loop: Header=BB3_164 Depth=1
	v_mov_b32_e32 v13, v8
	v_mov_b32_e32 v14, v7
	;; [unrolled: 1-line block ×3, first 2 shown]
	s_mul_i32 s14, s4, s25
	s_mov_b32 s15, 0
	s_inst_prefetch 0x1
	s_branch .LBB3_167
	.p2align	6
.LBB3_166:                              ;   in Loop: Header=BB3_167 Depth=2
	s_or_b32 exec_lo, exec_lo, s16
	v_add_nc_u32_e32 v3, 16, v3
	v_add_nc_u32_e32 v14, s11, v14
	;; [unrolled: 1-line block ×3, first 2 shown]
	v_cmp_le_i32_e32 vcc_lo, s25, v3
	s_or_b32 s15, vcc_lo, s15
	s_andn2_b32 exec_lo, exec_lo, s15
	s_cbranch_execz .LBB3_174
.LBB3_167:                              ;   Parent Loop BB3_164 Depth=1
                                        ; =>  This Loop Header: Depth=2
                                        ;       Child Loop BB3_170 Depth 3
	s_and_saveexec_b32 s16, s2
	s_cbranch_execz .LBB3_166
; %bb.168:                              ;   in Loop: Header=BB3_167 Depth=2
	v_mov_b32_e32 v15, v13
	v_mov_b32_e32 v16, v1
	s_mov_b32 s17, 0
	s_branch .LBB3_170
	.p2align	6
.LBB3_169:                              ;   in Loop: Header=BB3_170 Depth=3
	v_ashrrev_i32_e32 v5, 31, v4
	v_add_nc_u32_e32 v16, 4, v16
	v_lshlrev_b64 v[4:5], 2, v[4:5]
	v_add_co_u32 v4, vcc_lo, s12, v4
	v_add_co_ci_u32_e64 v5, null, s13, v5, vcc_lo
	v_cmp_le_i32_e32 vcc_lo, s25, v16
	global_load_dword v4, v[4:5], off
	s_or_b32 s17, vcc_lo, s17
	s_waitcnt vmcnt(0)
	ds_write_b32 v15, v4
	v_add_nc_u32_e32 v15, 0x110, v15
	s_andn2_b32 exec_lo, exec_lo, s17
	s_cbranch_execz .LBB3_166
.LBB3_170:                              ;   Parent Loop BB3_164 Depth=1
                                        ;     Parent Loop BB3_167 Depth=2
                                        ; =>    This Inner Loop Header: Depth=3
	s_and_b32 vcc_lo, exec_lo, s5
	s_cbranch_vccz .LBB3_172
; %bb.171:                              ;   in Loop: Header=BB3_170 Depth=3
	v_add_nc_u32_e32 v4, s14, v16
	v_mad_u64_u32 v[4:5], null, v4, s25, v[3:4]
	s_cbranch_execnz .LBB3_169
	s_branch .LBB3_173
	.p2align	6
.LBB3_172:                              ;   in Loop: Header=BB3_170 Depth=3
                                        ; implicit-def: $vgpr4
.LBB3_173:                              ;   in Loop: Header=BB3_170 Depth=3
	v_add_nc_u32_e32 v4, v14, v16
	s_branch .LBB3_169
.LBB3_174:                              ;   in Loop: Header=BB3_164 Depth=1
	s_inst_prefetch 0x2
	s_or_b32 exec_lo, exec_lo, s3
	s_andn2_b32 vcc_lo, exec_lo, s6
	s_waitcnt lgkmcnt(0)
	buffer_gl0_inv
	s_cbranch_vccnz .LBB3_198
; %bb.175:                              ;   in Loop: Header=BB3_164 Depth=1
	s_andn2_b32 vcc_lo, exec_lo, s7
	s_mov_b32 s3, 0
	s_cbranch_vccnz .LBB3_189
; %bb.176:                              ;   in Loop: Header=BB3_164 Depth=1
	v_mov_b32_e32 v3, v11
	v_mov_b32_e32 v4, v10
	;; [unrolled: 1-line block ×4, first 2 shown]
	s_mov_b32 s14, 0
	s_branch .LBB3_178
.LBB3_177:                              ;   in Loop: Header=BB3_178 Depth=2
	s_inst_prefetch 0x2
	s_or_b32 exec_lo, exec_lo, s15
	v_add_nc_u32_e32 v13, 8, v13
	v_add_nc_u32_e32 v5, 0x90, v5
	;; [unrolled: 1-line block ×4, first 2 shown]
	s_add_i32 s14, s14, 2
	s_mov_b32 s3, s8
	s_cmp_eq_u32 s14, s8
	s_cbranch_scc1 .LBB3_189
.LBB3_178:                              ;   Parent Loop BB3_164 Depth=1
                                        ; =>  This Loop Header: Depth=2
                                        ;       Child Loop BB3_181 Depth 3
                                        ;         Child Loop BB3_183 Depth 4
                                        ;       Child Loop BB3_186 Depth 3
                                        ;         Child Loop BB3_188 Depth 4
	s_and_saveexec_b32 s15, s0
	s_cbranch_execz .LBB3_177
; %bb.179:                              ;   in Loop: Header=BB3_178 Depth=2
	v_add_nc_u32_e32 v14, s14, v6
	v_mov_b32_e32 v15, v13
	v_mov_b32_e32 v16, v0
	s_mov_b32 s17, 0
	s_lshl_b32 s16, s14, 2
	v_cmp_gt_i32_e32 vcc_lo, s25, v14
	s_inst_prefetch 0x1
	s_branch .LBB3_181
	.p2align	6
.LBB3_180:                              ;   in Loop: Header=BB3_181 Depth=3
	s_or_b32 exec_lo, exec_lo, s28
	v_add_nc_u32_e32 v16, 16, v16
	v_add_nc_u32_e32 v15, 0x440, v15
	v_cmp_le_i32_e64 s3, s25, v16
	s_or_b32 s17, s3, s17
	s_andn2_b32 exec_lo, exec_lo, s17
	s_cbranch_execz .LBB3_184
.LBB3_181:                              ;   Parent Loop BB3_164 Depth=1
                                        ;     Parent Loop BB3_178 Depth=2
                                        ; =>    This Loop Header: Depth=3
                                        ;         Child Loop BB3_183 Depth 4
	s_and_saveexec_b32 s28, vcc_lo
	s_cbranch_execz .LBB3_180
; %bb.182:                              ;   in Loop: Header=BB3_181 Depth=3
	v_mul_lo_u32 v19, 0x44, v16
	v_mov_b32_e32 v17, v5
	v_mov_b32_e32 v18, v15
	;; [unrolled: 1-line block ×3, first 2 shown]
	s_mov_b32 s29, 0
	v_add3_u32 v19, 0x440, s16, v19
	.p2align	6
.LBB3_183:                              ;   Parent Loop BB3_164 Depth=1
                                        ;     Parent Loop BB3_178 Depth=2
                                        ;       Parent Loop BB3_181 Depth=3
                                        ; =>      This Inner Loop Header: Depth=4
	ds_read_b32 v21, v17
	ds_read_b32 v22, v19
	;; [unrolled: 1-line block ×3, first 2 shown]
	v_add_nc_u32_e32 v20, 4, v20
	v_add_nc_u32_e32 v17, 16, v17
	v_cmp_le_i32_e64 s3, s25, v20
	s_or_b32 s29, s3, s29
	s_waitcnt lgkmcnt(0)
	v_fma_f32 v21, -v21, v22, v23
	ds_write_b32 v18, v21
	v_add_nc_u32_e32 v18, 16, v18
	s_andn2_b32 exec_lo, exec_lo, s29
	s_cbranch_execnz .LBB3_183
	s_branch .LBB3_180
.LBB3_184:                              ;   in Loop: Header=BB3_178 Depth=2
	s_inst_prefetch 0x2
	s_or_b32 exec_lo, exec_lo, s17
	v_add3_u32 v14, v6, s14, 1
	v_mov_b32_e32 v15, v3
	v_mov_b32_e32 v16, v0
	s_mov_b32 s17, 0
	v_cmp_gt_i32_e32 vcc_lo, s25, v14
	s_inst_prefetch 0x1
	s_branch .LBB3_186
	.p2align	6
.LBB3_185:                              ;   in Loop: Header=BB3_186 Depth=3
	s_or_b32 exec_lo, exec_lo, s28
	v_add_nc_u32_e32 v16, 16, v16
	v_add_nc_u32_e32 v15, 0x440, v15
	v_cmp_le_i32_e64 s3, s25, v16
	s_or_b32 s17, s3, s17
	s_andn2_b32 exec_lo, exec_lo, s17
	s_cbranch_execz .LBB3_177
.LBB3_186:                              ;   Parent Loop BB3_164 Depth=1
                                        ;     Parent Loop BB3_178 Depth=2
                                        ; =>    This Loop Header: Depth=3
                                        ;         Child Loop BB3_188 Depth 4
	s_and_saveexec_b32 s28, vcc_lo
	s_cbranch_execz .LBB3_185
; %bb.187:                              ;   in Loop: Header=BB3_186 Depth=3
	v_mul_lo_u32 v19, 0x44, v16
	v_mov_b32_e32 v17, v15
	v_mov_b32_e32 v18, v4
	;; [unrolled: 1-line block ×3, first 2 shown]
	s_mov_b32 s29, 0
	v_add3_u32 v19, 0x440, s16, v19
	.p2align	6
.LBB3_188:                              ;   Parent Loop BB3_164 Depth=1
                                        ;     Parent Loop BB3_178 Depth=2
                                        ;       Parent Loop BB3_186 Depth=3
                                        ; =>      This Inner Loop Header: Depth=4
	ds_read_b32 v21, v18
	ds_read_b32 v22, v19 offset:4
	ds_read_b32 v23, v17
	v_add_nc_u32_e32 v20, 4, v20
	v_add_nc_u32_e32 v18, 16, v18
	v_cmp_le_i32_e64 s3, s25, v20
	s_or_b32 s29, s3, s29
	s_waitcnt lgkmcnt(0)
	v_fma_f32 v21, -v21, v22, v23
	ds_write_b32 v17, v21
	v_add_nc_u32_e32 v17, 16, v17
	s_andn2_b32 exec_lo, exec_lo, s29
	s_cbranch_execnz .LBB3_188
	s_branch .LBB3_185
.LBB3_189:                              ;   in Loop: Header=BB3_164 Depth=1
	s_andn2_b32 vcc_lo, exec_lo, s9
	s_mov_b32 s15, -1
	s_cbranch_vccnz .LBB3_199
; %bb.190:                              ;   in Loop: Header=BB3_164 Depth=1
	s_and_saveexec_b32 s14, s1
	s_xor_b32 s14, exec_lo, s14
	s_cbranch_execz .LBB3_192
; %bb.191:                              ;   in Loop: Header=BB3_164 Depth=1
	s_waitcnt lgkmcnt(0)
	buffer_gl0_inv
.LBB3_192:                              ;   in Loop: Header=BB3_164 Depth=1
	s_or_saveexec_b32 s14, s14
	s_mov_b32 s15, 0
	s_xor_b32 exec_lo, exec_lo, s14
	s_cbranch_execz .LBB3_201
; %bb.193:                              ;   in Loop: Header=BB3_164 Depth=1
	v_add_nc_u32_e32 v13, s3, v1
	v_mad_u64_u32 v[3:4], null, 0x48, s3, v[2:3]
	v_add_nc_u32_e32 v5, s3, v6
	s_lshl_b32 s16, s3, 2
	v_lshl_add_u32 v4, v13, 2, v12
	v_mov_b32_e32 v13, v0
	v_cmp_gt_i32_e32 vcc_lo, s25, v5
	s_inst_prefetch 0x1
	s_branch .LBB3_195
	.p2align	6
.LBB3_194:                              ;   in Loop: Header=BB3_195 Depth=2
	s_or_b32 exec_lo, exec_lo, s17
	v_add_nc_u32_e32 v13, 16, v13
	v_add_nc_u32_e32 v4, 0x440, v4
	v_cmp_le_i32_e64 s3, s25, v13
	s_or_b32 s15, s3, s15
	s_andn2_b32 exec_lo, exec_lo, s15
	s_cbranch_execz .LBB3_200
.LBB3_195:                              ;   Parent Loop BB3_164 Depth=1
                                        ; =>  This Loop Header: Depth=2
                                        ;       Child Loop BB3_197 Depth 3
	s_and_saveexec_b32 s17, vcc_lo
	s_cbranch_execz .LBB3_194
; %bb.196:                              ;   in Loop: Header=BB3_195 Depth=2
	v_mul_lo_u32 v16, 0x44, v13
	v_mov_b32_e32 v14, v3
	v_mov_b32_e32 v15, v4
	;; [unrolled: 1-line block ×3, first 2 shown]
	s_mov_b32 s28, 0
	v_add3_u32 v16, 0x440, s16, v16
	.p2align	6
.LBB3_197:                              ;   Parent Loop BB3_164 Depth=1
                                        ;     Parent Loop BB3_195 Depth=2
                                        ; =>    This Inner Loop Header: Depth=3
	ds_read_b32 v18, v14
	ds_read_b32 v19, v16
	;; [unrolled: 1-line block ×3, first 2 shown]
	v_add_nc_u32_e32 v17, 4, v17
	v_add_nc_u32_e32 v14, 16, v14
	v_cmp_le_i32_e64 s3, s25, v17
	s_or_b32 s28, s3, s28
	s_waitcnt lgkmcnt(0)
	v_fma_f32 v18, -v18, v19, v20
	ds_write_b32 v15, v18
	v_add_nc_u32_e32 v15, 16, v15
	s_andn2_b32 exec_lo, exec_lo, s28
	s_cbranch_execnz .LBB3_197
	s_branch .LBB3_194
.LBB3_198:                              ;   in Loop: Header=BB3_164 Depth=1
	s_mov_b32 s15, -1
.LBB3_199:                              ;   in Loop: Header=BB3_164 Depth=1
	s_and_saveexec_b32 s3, s15
	s_xor_b32 s14, exec_lo, s3
	s_cbranch_execz .LBB3_163
	s_branch .LBB3_202
.LBB3_200:                              ;   in Loop: Header=BB3_164 Depth=1
	s_inst_prefetch 0x2
	s_or_b32 exec_lo, exec_lo, s15
	s_mov_b32 s15, exec_lo
.LBB3_201:                              ;   in Loop: Header=BB3_164 Depth=1
	s_or_b32 exec_lo, exec_lo, s14
	s_and_saveexec_b32 s3, s15
	s_xor_b32 s14, exec_lo, s3
	s_cbranch_execz .LBB3_163
.LBB3_202:                              ;   in Loop: Header=BB3_164 Depth=1
	s_waitcnt lgkmcnt(0)
	buffer_gl0_inv
	s_and_saveexec_b32 s15, s0
	s_cbranch_execz .LBB3_162
; %bb.203:                              ;   in Loop: Header=BB3_164 Depth=1
	v_mov_b32_e32 v13, v8
	v_mov_b32_e32 v14, v7
	;; [unrolled: 1-line block ×3, first 2 shown]
	s_mul_i32 s16, s4, s25
	s_mov_b32 s17, 0
	s_inst_prefetch 0x1
	s_branch .LBB3_205
	.p2align	6
.LBB3_204:                              ;   in Loop: Header=BB3_205 Depth=2
	s_or_b32 exec_lo, exec_lo, s28
	v_add_nc_u32_e32 v3, 16, v3
	v_add_nc_u32_e32 v14, s11, v14
	;; [unrolled: 1-line block ×3, first 2 shown]
	v_cmp_le_i32_e32 vcc_lo, s25, v3
	s_or_b32 s17, vcc_lo, s17
	s_andn2_b32 exec_lo, exec_lo, s17
	s_cbranch_execz .LBB3_162
.LBB3_205:                              ;   Parent Loop BB3_164 Depth=1
                                        ; =>  This Loop Header: Depth=2
                                        ;       Child Loop BB3_208 Depth 3
	s_and_saveexec_b32 s28, s2
	s_cbranch_execz .LBB3_204
; %bb.206:                              ;   in Loop: Header=BB3_205 Depth=2
	v_mov_b32_e32 v15, v13
	v_mov_b32_e32 v16, v1
	s_mov_b32 s29, 0
	s_branch .LBB3_208
	.p2align	6
.LBB3_207:                              ;   in Loop: Header=BB3_208 Depth=3
	v_ashrrev_i32_e32 v5, 31, v4
	v_add_nc_u32_e32 v16, 4, v16
	v_add_nc_u32_e32 v15, 0x110, v15
	v_lshlrev_b64 v[4:5], 2, v[4:5]
	v_cmp_le_i32_e32 vcc_lo, s25, v16
	s_or_b32 s29, vcc_lo, s29
	v_add_co_u32 v4, s3, s12, v4
	v_add_co_ci_u32_e64 v5, null, s13, v5, s3
	s_waitcnt lgkmcnt(0)
	global_store_dword v[4:5], v17, off
	s_andn2_b32 exec_lo, exec_lo, s29
	s_cbranch_execz .LBB3_204
.LBB3_208:                              ;   Parent Loop BB3_164 Depth=1
                                        ;     Parent Loop BB3_205 Depth=2
                                        ; =>    This Inner Loop Header: Depth=3
	ds_read_b32 v17, v15
	s_and_b32 vcc_lo, exec_lo, s5
	s_cbranch_vccz .LBB3_210
; %bb.209:                              ;   in Loop: Header=BB3_208 Depth=3
	v_add_nc_u32_e32 v4, s16, v16
	v_mad_u64_u32 v[4:5], null, v4, s25, v[3:4]
	s_cbranch_execnz .LBB3_207
	s_branch .LBB3_211
	.p2align	6
.LBB3_210:                              ;   in Loop: Header=BB3_208 Depth=3
                                        ; implicit-def: $vgpr4
.LBB3_211:                              ;   in Loop: Header=BB3_208 Depth=3
	v_add_nc_u32_e32 v4, v14, v16
	s_branch .LBB3_207
.LBB3_212:
	v_or_b32_e32 v0, v0, v1
	s_mov_b32 s0, exec_lo
	v_cmpx_eq_u32_e32 0, v0
	s_cbranch_execz .LBB3_216
; %bb.213:
	v_mov_b32_e32 v0, 0
	v_mov_b32_e32 v1, 1
	s_add_u32 s0, s20, s26
	s_addc_u32 s1, s21, s27
	s_andn2_b32 vcc_lo, exec_lo, s23
	s_waitcnt vmcnt(0) lgkmcnt(0)
	s_waitcnt_vscnt null, 0x0
	global_store_dword v0, v1, s[0:1]
	s_cbranch_vccnz .LBB3_216
; %bb.214:
	v_mbcnt_lo_u32_b32 v0, exec_lo, 0
	v_cmp_eq_u32_e32 vcc_lo, 0, v0
	s_and_b32 exec_lo, exec_lo, vcc_lo
	s_cbranch_execz .LBB3_216
; %bb.215:
	s_add_i32 s0, s22, s24
	v_mov_b32_e32 v0, 0
	v_mov_b32_e32 v1, s0
	global_atomic_smin v0, v1, s[18:19]
.LBB3_216:
	s_endpgm
	.section	.rodata,"a",@progbits
	.p2align	6, 0x0
	.amdhsa_kernel _ZN9rocsparseL12bsrilu0_9_32ILj64ELj64ELj16EfEEv20rocsparse_direction_iPKiS3_PT2_S3_iPiS3_S6_21rocsparse_index_base_imNS_24const_host_device_scalarIfEENS8_IdEENS8_IS4_EEb
		.amdhsa_group_segment_fixed_size 2176
		.amdhsa_private_segment_fixed_size 0
		.amdhsa_kernarg_size 116
		.amdhsa_user_sgpr_count 6
		.amdhsa_user_sgpr_private_segment_buffer 1
		.amdhsa_user_sgpr_dispatch_ptr 0
		.amdhsa_user_sgpr_queue_ptr 0
		.amdhsa_user_sgpr_kernarg_segment_ptr 1
		.amdhsa_user_sgpr_dispatch_id 0
		.amdhsa_user_sgpr_flat_scratch_init 0
		.amdhsa_user_sgpr_private_segment_size 0
		.amdhsa_wavefront_size32 1
		.amdhsa_uses_dynamic_stack 0
		.amdhsa_system_sgpr_private_segment_wavefront_offset 0
		.amdhsa_system_sgpr_workgroup_id_x 1
		.amdhsa_system_sgpr_workgroup_id_y 0
		.amdhsa_system_sgpr_workgroup_id_z 0
		.amdhsa_system_sgpr_workgroup_info 0
		.amdhsa_system_vgpr_workitem_id 1
		.amdhsa_next_free_vgpr 36
		.amdhsa_next_free_sgpr 50
		.amdhsa_reserve_vcc 1
		.amdhsa_reserve_flat_scratch 0
		.amdhsa_float_round_mode_32 0
		.amdhsa_float_round_mode_16_64 0
		.amdhsa_float_denorm_mode_32 3
		.amdhsa_float_denorm_mode_16_64 3
		.amdhsa_dx10_clamp 1
		.amdhsa_ieee_mode 1
		.amdhsa_fp16_overflow 0
		.amdhsa_workgroup_processor_mode 1
		.amdhsa_memory_ordered 1
		.amdhsa_forward_progress 1
		.amdhsa_shared_vgpr_count 0
		.amdhsa_exception_fp_ieee_invalid_op 0
		.amdhsa_exception_fp_denorm_src 0
		.amdhsa_exception_fp_ieee_div_zero 0
		.amdhsa_exception_fp_ieee_overflow 0
		.amdhsa_exception_fp_ieee_underflow 0
		.amdhsa_exception_fp_ieee_inexact 0
		.amdhsa_exception_int_div_zero 0
	.end_amdhsa_kernel
	.section	.text._ZN9rocsparseL12bsrilu0_9_32ILj64ELj64ELj16EfEEv20rocsparse_direction_iPKiS3_PT2_S3_iPiS3_S6_21rocsparse_index_base_imNS_24const_host_device_scalarIfEENS8_IdEENS8_IS4_EEb,"axG",@progbits,_ZN9rocsparseL12bsrilu0_9_32ILj64ELj64ELj16EfEEv20rocsparse_direction_iPKiS3_PT2_S3_iPiS3_S6_21rocsparse_index_base_imNS_24const_host_device_scalarIfEENS8_IdEENS8_IS4_EEb,comdat
.Lfunc_end3:
	.size	_ZN9rocsparseL12bsrilu0_9_32ILj64ELj64ELj16EfEEv20rocsparse_direction_iPKiS3_PT2_S3_iPiS3_S6_21rocsparse_index_base_imNS_24const_host_device_scalarIfEENS8_IdEENS8_IS4_EEb, .Lfunc_end3-_ZN9rocsparseL12bsrilu0_9_32ILj64ELj64ELj16EfEEv20rocsparse_direction_iPKiS3_PT2_S3_iPiS3_S6_21rocsparse_index_base_imNS_24const_host_device_scalarIfEENS8_IdEENS8_IS4_EEb
                                        ; -- End function
	.set _ZN9rocsparseL12bsrilu0_9_32ILj64ELj64ELj16EfEEv20rocsparse_direction_iPKiS3_PT2_S3_iPiS3_S6_21rocsparse_index_base_imNS_24const_host_device_scalarIfEENS8_IdEENS8_IS4_EEb.num_vgpr, 36
	.set _ZN9rocsparseL12bsrilu0_9_32ILj64ELj64ELj16EfEEv20rocsparse_direction_iPKiS3_PT2_S3_iPiS3_S6_21rocsparse_index_base_imNS_24const_host_device_scalarIfEENS8_IdEENS8_IS4_EEb.num_agpr, 0
	.set _ZN9rocsparseL12bsrilu0_9_32ILj64ELj64ELj16EfEEv20rocsparse_direction_iPKiS3_PT2_S3_iPiS3_S6_21rocsparse_index_base_imNS_24const_host_device_scalarIfEENS8_IdEENS8_IS4_EEb.numbered_sgpr, 50
	.set _ZN9rocsparseL12bsrilu0_9_32ILj64ELj64ELj16EfEEv20rocsparse_direction_iPKiS3_PT2_S3_iPiS3_S6_21rocsparse_index_base_imNS_24const_host_device_scalarIfEENS8_IdEENS8_IS4_EEb.num_named_barrier, 0
	.set _ZN9rocsparseL12bsrilu0_9_32ILj64ELj64ELj16EfEEv20rocsparse_direction_iPKiS3_PT2_S3_iPiS3_S6_21rocsparse_index_base_imNS_24const_host_device_scalarIfEENS8_IdEENS8_IS4_EEb.private_seg_size, 0
	.set _ZN9rocsparseL12bsrilu0_9_32ILj64ELj64ELj16EfEEv20rocsparse_direction_iPKiS3_PT2_S3_iPiS3_S6_21rocsparse_index_base_imNS_24const_host_device_scalarIfEENS8_IdEENS8_IS4_EEb.uses_vcc, 1
	.set _ZN9rocsparseL12bsrilu0_9_32ILj64ELj64ELj16EfEEv20rocsparse_direction_iPKiS3_PT2_S3_iPiS3_S6_21rocsparse_index_base_imNS_24const_host_device_scalarIfEENS8_IdEENS8_IS4_EEb.uses_flat_scratch, 0
	.set _ZN9rocsparseL12bsrilu0_9_32ILj64ELj64ELj16EfEEv20rocsparse_direction_iPKiS3_PT2_S3_iPiS3_S6_21rocsparse_index_base_imNS_24const_host_device_scalarIfEENS8_IdEENS8_IS4_EEb.has_dyn_sized_stack, 0
	.set _ZN9rocsparseL12bsrilu0_9_32ILj64ELj64ELj16EfEEv20rocsparse_direction_iPKiS3_PT2_S3_iPiS3_S6_21rocsparse_index_base_imNS_24const_host_device_scalarIfEENS8_IdEENS8_IS4_EEb.has_recursion, 0
	.set _ZN9rocsparseL12bsrilu0_9_32ILj64ELj64ELj16EfEEv20rocsparse_direction_iPKiS3_PT2_S3_iPiS3_S6_21rocsparse_index_base_imNS_24const_host_device_scalarIfEENS8_IdEENS8_IS4_EEb.has_indirect_call, 0
	.section	.AMDGPU.csdata,"",@progbits
; Kernel info:
; codeLenInByte = 6956
; TotalNumSgprs: 52
; NumVgprs: 36
; ScratchSize: 0
; MemoryBound: 0
; FloatMode: 240
; IeeeMode: 1
; LDSByteSize: 2176 bytes/workgroup (compile time only)
; SGPRBlocks: 0
; VGPRBlocks: 4
; NumSGPRsForWavesPerEU: 52
; NumVGPRsForWavesPerEU: 36
; Occupancy: 16
; WaveLimiterHint : 1
; COMPUTE_PGM_RSRC2:SCRATCH_EN: 0
; COMPUTE_PGM_RSRC2:USER_SGPR: 6
; COMPUTE_PGM_RSRC2:TRAP_HANDLER: 0
; COMPUTE_PGM_RSRC2:TGID_X_EN: 1
; COMPUTE_PGM_RSRC2:TGID_Y_EN: 0
; COMPUTE_PGM_RSRC2:TGID_Z_EN: 0
; COMPUTE_PGM_RSRC2:TIDIG_COMP_CNT: 1
	.section	.text._ZN9rocsparseL12bsrilu0_9_32ILj64ELj64ELj32EfEEv20rocsparse_direction_iPKiS3_PT2_S3_iPiS3_S6_21rocsparse_index_base_imNS_24const_host_device_scalarIfEENS8_IdEENS8_IS4_EEb,"axG",@progbits,_ZN9rocsparseL12bsrilu0_9_32ILj64ELj64ELj32EfEEv20rocsparse_direction_iPKiS3_PT2_S3_iPiS3_S6_21rocsparse_index_base_imNS_24const_host_device_scalarIfEENS8_IdEENS8_IS4_EEb,comdat
	.globl	_ZN9rocsparseL12bsrilu0_9_32ILj64ELj64ELj32EfEEv20rocsparse_direction_iPKiS3_PT2_S3_iPiS3_S6_21rocsparse_index_base_imNS_24const_host_device_scalarIfEENS8_IdEENS8_IS4_EEb ; -- Begin function _ZN9rocsparseL12bsrilu0_9_32ILj64ELj64ELj32EfEEv20rocsparse_direction_iPKiS3_PT2_S3_iPiS3_S6_21rocsparse_index_base_imNS_24const_host_device_scalarIfEENS8_IdEENS8_IS4_EEb
	.p2align	8
	.type	_ZN9rocsparseL12bsrilu0_9_32ILj64ELj64ELj32EfEEv20rocsparse_direction_iPKiS3_PT2_S3_iPiS3_S6_21rocsparse_index_base_imNS_24const_host_device_scalarIfEENS8_IdEENS8_IS4_EEb,@function
_ZN9rocsparseL12bsrilu0_9_32ILj64ELj64ELj32EfEEv20rocsparse_direction_iPKiS3_PT2_S3_iPiS3_S6_21rocsparse_index_base_imNS_24const_host_device_scalarIfEENS8_IdEENS8_IS4_EEb: ; @_ZN9rocsparseL12bsrilu0_9_32ILj64ELj64ELj32EfEEv20rocsparse_direction_iPKiS3_PT2_S3_iPiS3_S6_21rocsparse_index_base_imNS_24const_host_device_scalarIfEENS8_IdEENS8_IS4_EEb
; %bb.0:
	s_clause 0x2
	s_load_dword s0, s[4:5], 0x70
	s_load_dwordx2 s[24:25], s[4:5], 0x48
	s_load_dwordx8 s[16:23], s[4:5], 0x50
	s_waitcnt lgkmcnt(0)
	s_bitcmp1_b32 s0, 0
	s_cselect_b32 s0, -1, 0
	s_cmp_eq_u32 s25, 0
	s_cselect_b32 s2, -1, 0
	s_cmp_lg_u32 s25, 0
	s_cselect_b32 s36, -1, 0
	s_or_b32 s7, s2, s0
	s_xor_b32 s3, s7, -1
	s_and_b32 s0, s2, exec_lo
	s_cselect_b32 s1, 0, s21
	s_cselect_b32 s0, 0, s20
	s_and_b32 vcc_lo, exec_lo, s7
	s_cbranch_vccnz .LBB4_2
; %bb.1:
	s_load_dword s0, s[18:19], 0x0
	s_waitcnt lgkmcnt(0)
	v_mov_b32_e32 v13, s0
	s_mov_b64 s[0:1], s[20:21]
	s_branch .LBB4_3
.LBB4_2:
	v_cndmask_b32_e64 v13, s18, 0, s2
.LBB4_3:
	v_mov_b32_e32 v3, s1
	v_cndmask_b32_e64 v4, 0, 1, s3
	v_mov_b32_e32 v2, s0
	s_andn2_b32 vcc_lo, exec_lo, s3
	s_cbranch_vccnz .LBB4_5
; %bb.4:
	v_mov_b32_e32 v2, s20
	v_mov_b32_e32 v3, s21
	flat_load_dwordx2 v[2:3], v[2:3]
.LBB4_5:
	v_cmp_ne_u32_e32 vcc_lo, 1, v4
	s_mov_b32 s7, 0
	s_cbranch_vccnz .LBB4_7
; %bb.6:
	s_load_dword s0, s[22:23], 0x0
	s_waitcnt lgkmcnt(0)
	v_mov_b32_e32 v12, s0
	s_branch .LBB4_8
.LBB4_7:
	v_cndmask_b32_e64 v12, s22, 0, s2
.LBB4_8:
	s_clause 0x1
	s_load_dwordx4 s[20:23], s[4:5], 0x30
	s_load_dwordx2 s[18:19], s[4:5], 0x40
	s_lshl_b64 s[0:1], s[6:7], 2
	s_waitcnt lgkmcnt(0)
	s_add_u32 s0, s22, s0
	s_addc_u32 s1, s23, s1
	s_load_dword s22, s[0:1], 0x0
	s_load_dwordx8 s[8:15], s[4:5], 0x8
	s_waitcnt lgkmcnt(0)
	s_ashr_i32 s23, s22, 31
	s_lshl_b64 s[26:27], s[22:23], 2
	s_add_u32 s0, s14, s26
	s_addc_u32 s1, s15, s27
	s_load_dword s28, s[0:1], 0x0
	s_waitcnt lgkmcnt(0)
	s_cmp_eq_u32 s28, -1
	s_cbranch_scc1 .LBB4_126
; %bb.9:
	s_add_u32 s0, s8, s26
	s_addc_u32 s1, s9, s27
	s_mov_b32 s33, 0
	s_load_dwordx2 s[0:1], s[0:1], 0x0
	s_clause 0x1
	s_load_dwordx2 s[30:31], s[4:5], 0x0
	s_load_dword s23, s[4:5], 0x28
	s_waitcnt lgkmcnt(0)
	s_sub_i32 s34, s0, s24
	s_sub_i32 s25, s1, s24
	s_cmp_ge_i32 s34, s28
	s_cbranch_scc1 .LBB4_115
; %bb.10:
	v_lshlrev_b32_e32 v4, 5, v1
	v_mad_u64_u32 v[7:8], null, s23, s34, v[0:1]
	v_lshlrev_b32_e32 v9, 2, v0
	s_cmp_lg_u32 s30, 0
	v_add3_u32 v4, v4, v0, s34
	s_cselect_b32 s29, -1, 0
	s_cmp_gt_i32 s23, 0
	v_mad_u32_u24 v15, 0x84, v1, v9
	s_cselect_b32 s37, -1, 0
	v_ashrrev_i32_e32 v5, 31, v4
	s_add_i32 s31, s31, 1
	v_mul_lo_u32 v16, s23, v7
	s_cmp_lg_u32 s23, 1
	s_movk_i32 s5, 0x10c
	v_lshlrev_b64 v[5:6], 2, v[4:5]
	v_cmp_gt_i32_e64 s0, s23, v0
	v_cmp_le_i32_e64 s1, s23, v0
	v_cmp_gt_i32_e64 s2, s23, v1
	v_cmp_eq_u32_e64 s3, 0, v1
	v_add_nc_u32_e32 v14, 1, v1
	v_add_co_u32 v5, vcc_lo, s10, v5
	v_cmp_gt_i32_e64 s4, s25, v4
	v_add_co_ci_u32_e64 v6, null, s11, v6, vcc_lo
	s_cselect_b32 s38, -1, 0
	s_and_b32 s39, s23, 0x7ffffffe
	v_mul_u32_u24_e32 v17, 0x84, v1
	v_add_nc_u32_e32 v18, 0x1080, v15
	v_add_nc_u32_e32 v19, 0x1104, v15
	v_mad_u32_u24 v7, 0x84, v1, 0x84
	v_mad_u32_u24 v20, 0x84, v1, s5
	v_add_nc_u32_e32 v21, 0x1188, v15
	v_add_nc_u32_e32 v8, 0x1104, v9
	;; [unrolled: 1-line block ×3, first 2 shown]
	v_mov_b32_e32 v23, 0
	s_bitcmp1_b32 s23, 0
	s_mul_i32 s41, s23, s23
	s_cselect_b32 s40, -1, 0
	s_lshl_b32 s42, s23, 5
	s_branch .LBB4_13
.LBB4_11:                               ;   in Loop: Header=BB4_13 Depth=1
	s_mov_b32 s33, -1
.LBB4_12:                               ;   in Loop: Header=BB4_13 Depth=1
	s_add_i32 s34, s34, 1
	v_add_nc_u32_e32 v16, s41, v16
	s_cmp_lt_i32 s34, s28
	s_cselect_b32 s6, -1, 0
	s_and_b32 s5, s5, s6
	s_and_b32 vcc_lo, exec_lo, s5
	s_cbranch_vccz .LBB4_115
.LBB4_13:                               ; =>This Loop Header: Depth=1
                                        ;     Child Loop BB4_16 Depth 2
                                        ;       Child Loop BB4_19 Depth 3
                                        ;     Child Loop BB4_25 Depth 2
                                        ;     Child Loop BB4_29 Depth 2
                                        ;       Child Loop BB4_32 Depth 3
                                        ;     Child Loop BB4_41 Depth 2
                                        ;       Child Loop BB4_46 Depth 3
                                        ;         Child Loop BB4_50 Depth 4
                                        ;       Child Loop BB4_53 Depth 3
                                        ;         Child Loop BB4_57 Depth 4
                                        ;     Child Loop BB4_62 Depth 2
                                        ;       Child Loop BB4_66 Depth 3
                                        ;     Child Loop BB4_71 Depth 2
                                        ;       Child Loop BB4_74 Depth 3
	;; [unrolled: 2-line block ×3, first 2 shown]
                                        ;       Child Loop BB4_97 Depth 3
                                        ;         Child Loop BB4_100 Depth 4
                                        ;       Child Loop BB4_106 Depth 3
                                        ;         Child Loop BB4_109 Depth 4
                                        ;           Child Loop BB4_110 Depth 5
	s_ashr_i32 s35, s34, 31
	s_lshl_b64 s[6:7], s[34:35], 2
	s_add_u32 s6, s10, s6
	s_addc_u32 s7, s11, s7
	global_load_dword v9, v23, s[6:7]
	s_waitcnt vmcnt(0)
	v_readfirstlane_b32 s5, v9
	s_and_saveexec_b32 s6, s0
	s_cbranch_execz .LBB4_23
; %bb.14:                               ;   in Loop: Header=BB4_13 Depth=1
	v_mov_b32_e32 v24, v18
	v_mov_b32_e32 v25, v16
	;; [unrolled: 1-line block ×3, first 2 shown]
	s_mul_i32 s7, s34, s23
	s_mov_b32 s35, 0
	s_inst_prefetch 0x1
	s_branch .LBB4_16
	.p2align	6
.LBB4_15:                               ;   in Loop: Header=BB4_16 Depth=2
	s_or_b32 exec_lo, exec_lo, s43
	v_add_nc_u32_e32 v9, 32, v9
	v_add_nc_u32_e32 v25, s42, v25
	;; [unrolled: 1-line block ×3, first 2 shown]
	v_cmp_le_i32_e32 vcc_lo, s23, v9
	s_or_b32 s35, vcc_lo, s35
	s_andn2_b32 exec_lo, exec_lo, s35
	s_cbranch_execz .LBB4_23
.LBB4_16:                               ;   Parent Loop BB4_13 Depth=1
                                        ; =>  This Loop Header: Depth=2
                                        ;       Child Loop BB4_19 Depth 3
	s_and_saveexec_b32 s43, s2
	s_cbranch_execz .LBB4_15
; %bb.17:                               ;   in Loop: Header=BB4_16 Depth=2
	v_mov_b32_e32 v26, v24
	v_mov_b32_e32 v27, v1
	s_mov_b32 s44, 0
	s_branch .LBB4_19
	.p2align	6
.LBB4_18:                               ;   in Loop: Header=BB4_19 Depth=3
	v_ashrrev_i32_e32 v11, 31, v10
	v_add_nc_u32_e32 v27, 2, v27
	v_lshlrev_b64 v[10:11], 2, v[10:11]
	v_add_co_u32 v10, vcc_lo, s12, v10
	v_add_co_ci_u32_e64 v11, null, s13, v11, vcc_lo
	v_cmp_le_i32_e32 vcc_lo, s23, v27
	global_load_dword v10, v[10:11], off
	s_or_b32 s44, vcc_lo, s44
	s_waitcnt vmcnt(0)
	ds_write_b32 v26, v10
	v_add_nc_u32_e32 v26, 0x108, v26
	s_andn2_b32 exec_lo, exec_lo, s44
	s_cbranch_execz .LBB4_15
.LBB4_19:                               ;   Parent Loop BB4_13 Depth=1
                                        ;     Parent Loop BB4_16 Depth=2
                                        ; =>    This Inner Loop Header: Depth=3
	s_and_b32 vcc_lo, exec_lo, s29
	s_cbranch_vccz .LBB4_21
; %bb.20:                               ;   in Loop: Header=BB4_19 Depth=3
	v_add_nc_u32_e32 v10, s7, v27
	v_mad_u64_u32 v[10:11], null, v10, s23, v[9:10]
	s_cbranch_execnz .LBB4_18
	s_branch .LBB4_22
	.p2align	6
.LBB4_21:                               ;   in Loop: Header=BB4_19 Depth=3
                                        ; implicit-def: $vgpr10
.LBB4_22:                               ;   in Loop: Header=BB4_19 Depth=3
	v_add_nc_u32_e32 v10, v25, v27
	s_branch .LBB4_18
.LBB4_23:                               ;   in Loop: Header=BB4_13 Depth=1
	s_inst_prefetch 0x2
	s_or_b32 exec_lo, exec_lo, s6
	s_sub_i32 s6, s5, s24
	s_ashr_i32 s7, s6, 31
	s_lshl_b64 s[6:7], s[6:7], 2
	s_add_u32 s44, s14, s6
	s_addc_u32 s45, s15, s7
	global_load_dword v9, v23, s[44:45]
	s_waitcnt vmcnt(0)
	v_cmp_eq_u32_e32 vcc_lo, -1, v9
	v_readfirstlane_b32 s35, v9
	v_cmp_ne_u32_e64 s5, -1, v9
	s_cbranch_vccnz .LBB4_11
; %bb.24:                               ;   in Loop: Header=BB4_13 Depth=1
	s_add_u32 s44, s8, s6
	s_addc_u32 s45, s9, s7
	s_add_u32 s6, s20, s6
	global_load_dword v9, v23, s[44:45] offset:4
	s_addc_u32 s7, s21, s7
	s_waitcnt vmcnt(0)
	v_readfirstlane_b32 s43, v9
.LBB4_25:                               ;   Parent Loop BB4_13 Depth=1
                                        ; =>  This Inner Loop Header: Depth=2
	global_load_dword v9, v23, s[6:7] glc dlc
	s_waitcnt vmcnt(0)
	v_cmp_eq_u32_e32 vcc_lo, 0, v9
	s_cbranch_vccnz .LBB4_25
; %bb.26:                               ;   in Loop: Header=BB4_13 Depth=1
	s_waitcnt lgkmcnt(0)
	buffer_gl1_inv
	buffer_gl0_inv
	s_and_saveexec_b32 s6, s0
	s_cbranch_execz .LBB4_36
; %bb.27:                               ;   in Loop: Header=BB4_13 Depth=1
	s_mul_i32 s7, s35, s23
	v_mov_b32_e32 v25, v15
	v_add_nc_u32_e32 v9, s7, v0
	s_mov_b32 s44, 0
	v_mul_lo_u32 v24, s23, v9
	v_mov_b32_e32 v9, v0
	s_inst_prefetch 0x1
	s_branch .LBB4_29
	.p2align	6
.LBB4_28:                               ;   in Loop: Header=BB4_29 Depth=2
	s_or_b32 exec_lo, exec_lo, s45
	v_add_nc_u32_e32 v9, 32, v9
	v_add_nc_u32_e32 v24, s42, v24
	;; [unrolled: 1-line block ×3, first 2 shown]
	v_cmp_le_i32_e32 vcc_lo, s23, v9
	s_or_b32 s44, vcc_lo, s44
	s_andn2_b32 exec_lo, exec_lo, s44
	s_cbranch_execz .LBB4_36
.LBB4_29:                               ;   Parent Loop BB4_13 Depth=1
                                        ; =>  This Loop Header: Depth=2
                                        ;       Child Loop BB4_32 Depth 3
	s_and_saveexec_b32 s45, s2
	s_cbranch_execz .LBB4_28
; %bb.30:                               ;   in Loop: Header=BB4_29 Depth=2
	v_mov_b32_e32 v26, v25
	v_mov_b32_e32 v27, v1
	s_mov_b32 s46, 0
	s_branch .LBB4_32
	.p2align	6
.LBB4_31:                               ;   in Loop: Header=BB4_32 Depth=3
	v_ashrrev_i32_e32 v11, 31, v10
	v_add_nc_u32_e32 v27, 2, v27
	v_lshlrev_b64 v[10:11], 2, v[10:11]
	v_add_co_u32 v10, vcc_lo, s12, v10
	v_add_co_ci_u32_e64 v11, null, s13, v11, vcc_lo
	v_cmp_le_i32_e32 vcc_lo, s23, v27
	global_load_dword v10, v[10:11], off
	s_or_b32 s46, vcc_lo, s46
	s_waitcnt vmcnt(0)
	ds_write_b32 v26, v10
	v_add_nc_u32_e32 v26, 0x108, v26
	s_andn2_b32 exec_lo, exec_lo, s46
	s_cbranch_execz .LBB4_28
.LBB4_32:                               ;   Parent Loop BB4_13 Depth=1
                                        ;     Parent Loop BB4_29 Depth=2
                                        ; =>    This Inner Loop Header: Depth=3
	s_and_b32 vcc_lo, exec_lo, s29
	s_cbranch_vccz .LBB4_34
; %bb.33:                               ;   in Loop: Header=BB4_32 Depth=3
	v_add_nc_u32_e32 v10, s7, v27
	v_mad_u64_u32 v[10:11], null, v10, s23, v[9:10]
	s_cbranch_execnz .LBB4_31
	s_branch .LBB4_35
	.p2align	6
.LBB4_34:                               ;   in Loop: Header=BB4_32 Depth=3
                                        ; implicit-def: $vgpr10
.LBB4_35:                               ;   in Loop: Header=BB4_32 Depth=3
	v_add_nc_u32_e32 v10, v24, v27
	s_branch .LBB4_31
.LBB4_36:                               ;   in Loop: Header=BB4_13 Depth=1
	s_inst_prefetch 0x2
	s_or_b32 exec_lo, exec_lo, s6
	s_andn2_b32 vcc_lo, exec_lo, s37
	s_waitcnt lgkmcnt(0)
	buffer_gl0_inv
	s_cbranch_vccnz .LBB4_68
; %bb.37:                               ;   in Loop: Header=BB4_13 Depth=1
	s_andn2_b32 vcc_lo, exec_lo, s38
	s_mov_b32 s6, 0
	s_cbranch_vccnz .LBB4_58
; %bb.38:                               ;   in Loop: Header=BB4_13 Depth=1
	v_mov_b32_e32 v9, v21
	v_mov_b32_e32 v10, v20
	;; [unrolled: 1-line block ×4, first 2 shown]
	s_mov_b32 s7, 0
	s_branch .LBB4_41
.LBB4_39:                               ;   in Loop: Header=BB4_41 Depth=2
	s_or_b32 exec_lo, exec_lo, s46
.LBB4_40:                               ;   in Loop: Header=BB4_41 Depth=2
	s_or_b32 exec_lo, exec_lo, s44
	v_add_nc_u32_e32 v24, 0x108, v24
	v_add_nc_u32_e32 v11, 0x110, v11
	;; [unrolled: 1-line block ×4, first 2 shown]
	s_add_i32 s7, s7, 2
	s_mov_b32 s6, s39
	s_cmp_eq_u32 s7, s39
	s_waitcnt lgkmcnt(0)
	buffer_gl0_inv
	s_cbranch_scc1 .LBB4_58
.LBB4_41:                               ;   Parent Loop BB4_13 Depth=1
                                        ; =>  This Loop Header: Depth=2
                                        ;       Child Loop BB4_46 Depth 3
                                        ;         Child Loop BB4_50 Depth 4
                                        ;       Child Loop BB4_53 Depth 3
                                        ;         Child Loop BB4_57 Depth 4
	s_and_saveexec_b32 s6, s1
	s_xor_b32 s6, exec_lo, s6
	s_cbranch_execz .LBB4_43
; %bb.42:                               ;   in Loop: Header=BB4_41 Depth=2
	buffer_gl0_inv
.LBB4_43:                               ;   in Loop: Header=BB4_41 Depth=2
	s_andn2_saveexec_b32 s44, s6
	s_cbranch_execz .LBB4_40
; %bb.44:                               ;   in Loop: Header=BB4_41 Depth=2
	s_mul_i32 s45, s7, 0x84
	s_lshl_b32 s6, s7, 2
	v_add_nc_u32_e32 v26, s7, v14
	s_add_i32 s46, s45, s6
	v_mov_b32_e32 v27, v24
	v_mov_b32_e32 v25, s46
	;; [unrolled: 1-line block ×3, first 2 shown]
	v_cmp_gt_i32_e64 s6, s23, v26
	s_addk_i32 s45, 0x1080
	s_mov_b32 s47, 0
	ds_read_b32 v25, v25
	s_branch .LBB4_46
.LBB4_45:                               ;   in Loop: Header=BB4_46 Depth=3
	s_or_b32 exec_lo, exec_lo, s48
	v_add_nc_u32_e32 v28, 32, v28
	v_add_nc_u32_e32 v27, 0x80, v27
	v_cmp_le_i32_e32 vcc_lo, s23, v28
	s_or_b32 s47, vcc_lo, s47
	s_andn2_b32 exec_lo, exec_lo, s47
	s_cbranch_execz .LBB4_51
.LBB4_46:                               ;   Parent Loop BB4_13 Depth=1
                                        ;     Parent Loop BB4_41 Depth=2
                                        ; =>    This Loop Header: Depth=3
                                        ;         Child Loop BB4_50 Depth 4
	v_lshl_add_u32 v30, v28, 2, s45
	ds_read_b32 v29, v30
	s_waitcnt lgkmcnt(0)
	buffer_gl0_inv
	v_div_scale_f32 v31, null, v25, v25, v29
	v_rcp_f32_e32 v32, v31
	v_fma_f32 v33, -v31, v32, 1.0
	v_fmac_f32_e32 v32, v33, v32
	v_div_scale_f32 v33, vcc_lo, v29, v25, v29
	v_mul_f32_e32 v34, v33, v32
	v_fma_f32 v35, -v31, v34, v33
	v_fmac_f32_e32 v34, v35, v32
	v_fma_f32 v31, -v31, v34, v33
	v_div_fmas_f32 v31, v31, v32, v34
	v_div_fixup_f32 v29, v31, v25, v29
	s_and_saveexec_b32 s48, s3
; %bb.47:                               ;   in Loop: Header=BB4_46 Depth=3
	ds_write_b32 v30, v29
; %bb.48:                               ;   in Loop: Header=BB4_46 Depth=3
	s_or_b32 exec_lo, exec_lo, s48
	s_and_saveexec_b32 s48, s6
	s_cbranch_execz .LBB4_45
; %bb.49:                               ;   in Loop: Header=BB4_46 Depth=3
	v_mov_b32_e32 v30, v11
	v_mov_b32_e32 v31, v27
	;; [unrolled: 1-line block ×3, first 2 shown]
	s_mov_b32 s49, 0
	.p2align	6
.LBB4_50:                               ;   Parent Loop BB4_13 Depth=1
                                        ;     Parent Loop BB4_41 Depth=2
                                        ;       Parent Loop BB4_46 Depth=3
                                        ; =>      This Inner Loop Header: Depth=4
	ds_read_b32 v33, v30
	ds_read_b32 v34, v31
	v_add_nc_u32_e32 v32, 2, v32
	v_add_nc_u32_e32 v30, 0x108, v30
	v_cmp_le_i32_e32 vcc_lo, s23, v32
	s_or_b32 s49, vcc_lo, s49
	s_waitcnt lgkmcnt(0)
	v_fma_f32 v33, -v29, v33, v34
	ds_write_b32 v31, v33
	v_add_nc_u32_e32 v31, 0x108, v31
	s_andn2_b32 exec_lo, exec_lo, s49
	s_cbranch_execnz .LBB4_50
	s_branch .LBB4_45
.LBB4_51:                               ;   in Loop: Header=BB4_41 Depth=2
	s_or_b32 exec_lo, exec_lo, s47
	v_mov_b32_e32 v25, s46
	s_waitcnt lgkmcnt(0)
	buffer_gl0_inv
	v_add3_u32 v26, v14, s7, 1
	v_mov_b32_e32 v27, v9
	v_mov_b32_e32 v28, v0
	ds_read_b32 v25, v25 offset:136
	s_mov_b32 s46, 0
	v_cmp_gt_i32_e64 s6, s23, v26
	s_branch .LBB4_53
.LBB4_52:                               ;   in Loop: Header=BB4_53 Depth=3
	s_or_b32 exec_lo, exec_lo, s47
	v_add_nc_u32_e32 v28, 32, v28
	v_add_nc_u32_e32 v27, 0x80, v27
	v_cmp_le_i32_e32 vcc_lo, s23, v28
	s_or_b32 s46, vcc_lo, s46
	s_andn2_b32 exec_lo, exec_lo, s46
	s_cbranch_execz .LBB4_39
.LBB4_53:                               ;   Parent Loop BB4_13 Depth=1
                                        ;     Parent Loop BB4_41 Depth=2
                                        ; =>    This Loop Header: Depth=3
                                        ;         Child Loop BB4_57 Depth 4
	v_lshl_add_u32 v30, v28, 2, s45
	ds_read_b32 v29, v30 offset:132
	s_waitcnt lgkmcnt(0)
	buffer_gl0_inv
	v_div_scale_f32 v31, null, v25, v25, v29
	v_rcp_f32_e32 v32, v31
	v_fma_f32 v33, -v31, v32, 1.0
	v_fmac_f32_e32 v32, v33, v32
	v_div_scale_f32 v33, vcc_lo, v29, v25, v29
	v_mul_f32_e32 v34, v33, v32
	v_fma_f32 v35, -v31, v34, v33
	v_fmac_f32_e32 v34, v35, v32
	v_fma_f32 v31, -v31, v34, v33
	v_div_fmas_f32 v31, v31, v32, v34
	v_div_fixup_f32 v29, v31, v25, v29
	s_and_saveexec_b32 s47, s3
; %bb.54:                               ;   in Loop: Header=BB4_53 Depth=3
	ds_write_b32 v30, v29 offset:132
; %bb.55:                               ;   in Loop: Header=BB4_53 Depth=3
	s_or_b32 exec_lo, exec_lo, s47
	s_and_saveexec_b32 s47, s6
	s_cbranch_execz .LBB4_52
; %bb.56:                               ;   in Loop: Header=BB4_53 Depth=3
	v_mov_b32_e32 v30, v27
	v_mov_b32_e32 v31, v10
	;; [unrolled: 1-line block ×3, first 2 shown]
	s_mov_b32 s48, 0
	.p2align	6
.LBB4_57:                               ;   Parent Loop BB4_13 Depth=1
                                        ;     Parent Loop BB4_41 Depth=2
                                        ;       Parent Loop BB4_53 Depth=3
                                        ; =>      This Inner Loop Header: Depth=4
	ds_read_b32 v33, v31
	ds_read_b32 v34, v30
	v_add_nc_u32_e32 v32, 2, v32
	v_add_nc_u32_e32 v31, 0x108, v31
	v_cmp_le_i32_e32 vcc_lo, s23, v32
	s_or_b32 s48, vcc_lo, s48
	s_waitcnt lgkmcnt(0)
	v_fma_f32 v33, -v29, v33, v34
	ds_write_b32 v30, v33
	v_add_nc_u32_e32 v30, 0x108, v30
	s_andn2_b32 exec_lo, exec_lo, s48
	s_cbranch_execnz .LBB4_57
	s_branch .LBB4_52
.LBB4_58:                               ;   in Loop: Header=BB4_13 Depth=1
	s_andn2_b32 vcc_lo, exec_lo, s40
	s_cbranch_vccnz .LBB4_68
; %bb.59:                               ;   in Loop: Header=BB4_13 Depth=1
	s_and_saveexec_b32 s7, s0
	s_cbranch_execz .LBB4_67
; %bb.60:                               ;   in Loop: Header=BB4_13 Depth=1
	s_mul_i32 s44, s6, 0x84
	s_lshl_b32 s45, s6, 2
	v_add_nc_u32_e32 v25, s6, v14
	s_add_i32 s45, s44, s45
	s_addk_i32 s44, 0x1080
	v_mov_b32_e32 v9, s45
	s_mov_b32 s45, 0
	ds_read_b32 v24, v9
	v_add_nc_u32_e32 v9, s6, v1
	v_mad_u64_u32 v[9:10], null, 0x84, v9, v[8:9]
	v_mad_u64_u32 v[10:11], null, 0x88, s6, v[7:8]
	v_cmp_gt_i32_e64 s6, s23, v25
	v_mov_b32_e32 v11, v0
	s_branch .LBB4_62
.LBB4_61:                               ;   in Loop: Header=BB4_62 Depth=2
	s_or_b32 exec_lo, exec_lo, s46
	v_add_nc_u32_e32 v11, 32, v11
	v_add_nc_u32_e32 v9, 0x80, v9
	v_cmp_le_i32_e32 vcc_lo, s23, v11
	s_or_b32 s45, vcc_lo, s45
	s_andn2_b32 exec_lo, exec_lo, s45
	s_cbranch_execz .LBB4_67
.LBB4_62:                               ;   Parent Loop BB4_13 Depth=1
                                        ; =>  This Loop Header: Depth=2
                                        ;       Child Loop BB4_66 Depth 3
	v_lshl_add_u32 v27, v11, 2, s44
	ds_read_b32 v26, v27
	s_waitcnt lgkmcnt(0)
	buffer_gl0_inv
	v_div_scale_f32 v28, null, v24, v24, v26
	v_rcp_f32_e32 v29, v28
	v_fma_f32 v30, -v28, v29, 1.0
	v_fmac_f32_e32 v29, v30, v29
	v_div_scale_f32 v30, vcc_lo, v26, v24, v26
	v_mul_f32_e32 v31, v30, v29
	v_fma_f32 v32, -v28, v31, v30
	v_fmac_f32_e32 v31, v32, v29
	v_fma_f32 v28, -v28, v31, v30
	v_div_fmas_f32 v28, v28, v29, v31
	v_div_fixup_f32 v26, v28, v24, v26
	s_and_saveexec_b32 s46, s3
; %bb.63:                               ;   in Loop: Header=BB4_62 Depth=2
	ds_write_b32 v27, v26
; %bb.64:                               ;   in Loop: Header=BB4_62 Depth=2
	s_or_b32 exec_lo, exec_lo, s46
	s_and_saveexec_b32 s46, s6
	s_cbranch_execz .LBB4_61
; %bb.65:                               ;   in Loop: Header=BB4_62 Depth=2
	v_mov_b32_e32 v27, v10
	v_mov_b32_e32 v28, v9
	;; [unrolled: 1-line block ×3, first 2 shown]
	s_mov_b32 s47, 0
	.p2align	6
.LBB4_66:                               ;   Parent Loop BB4_13 Depth=1
                                        ;     Parent Loop BB4_62 Depth=2
                                        ; =>    This Inner Loop Header: Depth=3
	ds_read_b32 v30, v27
	ds_read_b32 v31, v28
	v_add_nc_u32_e32 v29, 2, v29
	v_add_nc_u32_e32 v27, 0x108, v27
	v_cmp_le_i32_e32 vcc_lo, s23, v29
	s_or_b32 s47, vcc_lo, s47
	s_waitcnt lgkmcnt(0)
	v_fma_f32 v30, -v26, v30, v31
	ds_write_b32 v28, v30
	v_add_nc_u32_e32 v28, 0x108, v28
	s_andn2_b32 exec_lo, exec_lo, s47
	s_cbranch_execnz .LBB4_66
	s_branch .LBB4_61
.LBB4_67:                               ;   in Loop: Header=BB4_13 Depth=1
	s_or_b32 exec_lo, exec_lo, s7
	s_waitcnt lgkmcnt(0)
	buffer_gl0_inv
.LBB4_68:                               ;   in Loop: Header=BB4_13 Depth=1
	s_and_saveexec_b32 s7, s0
	s_cbranch_execz .LBB4_78
; %bb.69:                               ;   in Loop: Header=BB4_13 Depth=1
	v_mov_b32_e32 v24, v18
	v_mov_b32_e32 v25, v16
	;; [unrolled: 1-line block ×3, first 2 shown]
	s_mul_i32 s44, s34, s23
	s_mov_b32 s45, 0
	s_inst_prefetch 0x1
	s_branch .LBB4_71
	.p2align	6
.LBB4_70:                               ;   in Loop: Header=BB4_71 Depth=2
	s_or_b32 exec_lo, exec_lo, s46
	v_add_nc_u32_e32 v9, 32, v9
	v_add_nc_u32_e32 v25, s42, v25
	;; [unrolled: 1-line block ×3, first 2 shown]
	v_cmp_le_i32_e32 vcc_lo, s23, v9
	s_or_b32 s45, vcc_lo, s45
	s_andn2_b32 exec_lo, exec_lo, s45
	s_cbranch_execz .LBB4_78
.LBB4_71:                               ;   Parent Loop BB4_13 Depth=1
                                        ; =>  This Loop Header: Depth=2
                                        ;       Child Loop BB4_74 Depth 3
	s_and_saveexec_b32 s46, s2
	s_cbranch_execz .LBB4_70
; %bb.72:                               ;   in Loop: Header=BB4_71 Depth=2
	v_mov_b32_e32 v26, v24
	v_mov_b32_e32 v27, v1
	s_mov_b32 s47, 0
	s_branch .LBB4_74
	.p2align	6
.LBB4_73:                               ;   in Loop: Header=BB4_74 Depth=3
	v_ashrrev_i32_e32 v11, 31, v10
	v_add_nc_u32_e32 v27, 2, v27
	v_add_nc_u32_e32 v26, 0x108, v26
	v_lshlrev_b64 v[10:11], 2, v[10:11]
	v_cmp_le_i32_e32 vcc_lo, s23, v27
	s_or_b32 s47, vcc_lo, s47
	v_add_co_u32 v10, s6, s12, v10
	v_add_co_ci_u32_e64 v11, null, s13, v11, s6
	s_waitcnt lgkmcnt(0)
	global_store_dword v[10:11], v28, off
	s_andn2_b32 exec_lo, exec_lo, s47
	s_cbranch_execz .LBB4_70
.LBB4_74:                               ;   Parent Loop BB4_13 Depth=1
                                        ;     Parent Loop BB4_71 Depth=2
                                        ; =>    This Inner Loop Header: Depth=3
	ds_read_b32 v28, v26
	s_and_b32 vcc_lo, exec_lo, s29
	s_cbranch_vccz .LBB4_76
; %bb.75:                               ;   in Loop: Header=BB4_74 Depth=3
	v_add_nc_u32_e32 v10, s44, v27
	v_mad_u64_u32 v[10:11], null, v10, s23, v[9:10]
	s_cbranch_execnz .LBB4_73
	s_branch .LBB4_77
	.p2align	6
.LBB4_76:                               ;   in Loop: Header=BB4_74 Depth=3
                                        ; implicit-def: $vgpr10
.LBB4_77:                               ;   in Loop: Header=BB4_74 Depth=3
	v_add_nc_u32_e32 v10, v25, v27
	s_branch .LBB4_73
.LBB4_78:                               ;   in Loop: Header=BB4_13 Depth=1
	s_inst_prefetch 0x2
	s_or_b32 exec_lo, exec_lo, s7
	s_sub_i32 s43, s43, s24
	s_add_i32 s6, s35, 1
	s_cmp_ge_i32 s6, s43
	s_cbranch_scc1 .LBB4_12
; %bb.79:                               ;   in Loop: Header=BB4_13 Depth=1
	v_mad_u64_u32 v[9:10], null, s23, s6, v[0:1]
	v_mul_lo_u32 v24, s23, v9
	s_branch .LBB4_83
.LBB4_80:                               ;   in Loop: Header=BB4_83 Depth=2
	s_or_b32 exec_lo, exec_lo, s35
.LBB4_81:                               ;   in Loop: Header=BB4_83 Depth=2
	s_or_b32 exec_lo, exec_lo, s7
.LBB4_82:                               ;   in Loop: Header=BB4_83 Depth=2
	v_add_nc_u32_e32 v24, s41, v24
	s_add_i32 s6, s6, 1
	s_waitcnt lgkmcnt(0)
	s_waitcnt_vscnt null, 0x0
	buffer_gl0_inv
	s_cmp_lt_i32 s6, s43
	s_cbranch_scc0 .LBB4_12
.LBB4_83:                               ;   Parent Loop BB4_13 Depth=1
                                        ; =>  This Loop Header: Depth=2
                                        ;       Child Loop BB4_88 Depth 3
                                        ;       Child Loop BB4_97 Depth 3
                                        ;         Child Loop BB4_100 Depth 4
                                        ;       Child Loop BB4_106 Depth 3
                                        ;         Child Loop BB4_109 Depth 4
                                        ;           Child Loop BB4_110 Depth 5
	s_ashr_i32 s7, s6, 31
	v_mov_b32_e32 v10, s31
	s_lshl_b64 s[44:45], s[6:7], 2
	s_add_u32 s44, s10, s44
	s_addc_u32 s45, s11, s45
	global_load_dword v9, v23, s[44:45]
	s_and_saveexec_b32 s7, s4
	s_cbranch_execz .LBB4_85
; %bb.84:                               ;   in Loop: Header=BB4_83 Depth=2
	global_load_dword v10, v[5:6], off
	s_waitcnt vmcnt(0)
	v_subrev_nc_u32_e32 v10, s24, v10
.LBB4_85:                               ;   in Loop: Header=BB4_83 Depth=2
	s_or_b32 exec_lo, exec_lo, s7
	s_waitcnt vmcnt(0)
	v_subrev_nc_u32_e32 v11, s24, v9
	v_mov_b32_e32 v25, v4
	s_mov_b32 s7, exec_lo
	v_cmpx_lt_i32_e64 v10, v11
	s_cbranch_execz .LBB4_91
; %bb.86:                               ;   in Loop: Header=BB4_83 Depth=2
	v_mov_b32_e32 v9, v4
	s_mov_b32 s35, 0
	s_branch .LBB4_88
	.p2align	6
.LBB4_87:                               ;   in Loop: Header=BB4_88 Depth=3
	s_or_b32 exec_lo, exec_lo, s44
	v_cmp_ge_i32_e32 vcc_lo, v10, v11
	v_mov_b32_e32 v9, v25
	s_or_b32 s35, vcc_lo, s35
	s_andn2_b32 exec_lo, exec_lo, s35
	s_cbranch_execz .LBB4_90
.LBB4_88:                               ;   Parent Loop BB4_13 Depth=1
                                        ;     Parent Loop BB4_83 Depth=2
                                        ; =>    This Inner Loop Header: Depth=3
	v_add_nc_u32_e32 v25, 64, v9
	v_mov_b32_e32 v10, s31
	s_mov_b32 s44, exec_lo
	v_cmpx_gt_i32_e64 s25, v25
	s_cbranch_execz .LBB4_87
; %bb.89:                               ;   in Loop: Header=BB4_88 Depth=3
	v_ashrrev_i32_e32 v10, 31, v9
	v_lshlrev_b64 v[9:10], 2, v[9:10]
	v_add_co_u32 v9, vcc_lo, s10, v9
	v_add_co_ci_u32_e64 v10, null, s11, v10, vcc_lo
	global_load_dword v9, v[9:10], off offset:256
	s_waitcnt vmcnt(0)
	v_subrev_nc_u32_e32 v10, s24, v9
	s_branch .LBB4_87
.LBB4_90:                               ;   in Loop: Header=BB4_83 Depth=2
	s_or_b32 exec_lo, exec_lo, s35
.LBB4_91:                               ;   in Loop: Header=BB4_83 Depth=2
	s_or_b32 exec_lo, exec_lo, s7
	v_cmp_eq_u32_e32 vcc_lo, v10, v11
	s_cbranch_vccz .LBB4_82
; %bb.92:                               ;   in Loop: Header=BB4_83 Depth=2
	s_ff1_i32_b32 s7, vcc_lo
	s_lshl_b32 s7, s7, 2
	v_mov_b32_e32 v9, s7
	ds_bpermute_b32 v25, v9, v25
	s_and_saveexec_b32 s7, s1
	s_xor_b32 s7, exec_lo, s7
	s_cbranch_execz .LBB4_94
; %bb.93:                               ;   in Loop: Header=BB4_83 Depth=2
	s_waitcnt lgkmcnt(0)
	s_waitcnt_vscnt null, 0x0
	buffer_gl0_inv
                                        ; implicit-def: $vgpr25
.LBB4_94:                               ;   in Loop: Header=BB4_83 Depth=2
	s_andn2_saveexec_b32 s7, s7
	s_cbranch_execz .LBB4_81
; %bb.95:                               ;   in Loop: Header=BB4_83 Depth=2
	v_mov_b32_e32 v26, v15
	v_mov_b32_e32 v27, v24
	;; [unrolled: 1-line block ×3, first 2 shown]
	s_mul_i32 s44, s6, s23
	s_mov_b32 s35, 0
	s_inst_prefetch 0x1
	s_branch .LBB4_97
	.p2align	6
.LBB4_96:                               ;   in Loop: Header=BB4_97 Depth=3
	s_or_b32 exec_lo, exec_lo, s45
	v_add_nc_u32_e32 v9, 32, v9
	v_add_nc_u32_e32 v27, s42, v27
	;; [unrolled: 1-line block ×3, first 2 shown]
	v_cmp_le_i32_e32 vcc_lo, s23, v9
	s_or_b32 s35, vcc_lo, s35
	s_andn2_b32 exec_lo, exec_lo, s35
	s_cbranch_execz .LBB4_104
.LBB4_97:                               ;   Parent Loop BB4_13 Depth=1
                                        ;     Parent Loop BB4_83 Depth=2
                                        ; =>    This Loop Header: Depth=3
                                        ;         Child Loop BB4_100 Depth 4
	s_and_saveexec_b32 s45, s2
	s_cbranch_execz .LBB4_96
; %bb.98:                               ;   in Loop: Header=BB4_97 Depth=3
	v_mov_b32_e32 v28, v26
	v_mov_b32_e32 v29, v1
	s_mov_b32 s46, 0
	s_branch .LBB4_100
	.p2align	6
.LBB4_99:                               ;   in Loop: Header=BB4_100 Depth=4
	v_ashrrev_i32_e32 v11, 31, v10
	v_add_nc_u32_e32 v29, 2, v29
	v_lshlrev_b64 v[10:11], 2, v[10:11]
	v_add_co_u32 v10, vcc_lo, s12, v10
	v_add_co_ci_u32_e64 v11, null, s13, v11, vcc_lo
	v_cmp_le_i32_e32 vcc_lo, s23, v29
	global_load_dword v10, v[10:11], off
	s_or_b32 s46, vcc_lo, s46
	s_waitcnt vmcnt(0)
	ds_write_b32 v28, v10
	v_add_nc_u32_e32 v28, 0x108, v28
	s_andn2_b32 exec_lo, exec_lo, s46
	s_cbranch_execz .LBB4_96
.LBB4_100:                              ;   Parent Loop BB4_13 Depth=1
                                        ;     Parent Loop BB4_83 Depth=2
                                        ;       Parent Loop BB4_97 Depth=3
                                        ; =>      This Inner Loop Header: Depth=4
	s_and_b32 vcc_lo, exec_lo, s29
	s_cbranch_vccz .LBB4_102
; %bb.101:                              ;   in Loop: Header=BB4_100 Depth=4
	v_add_nc_u32_e32 v10, s44, v29
	v_mad_u64_u32 v[10:11], null, v10, s23, v[9:10]
	s_cbranch_execnz .LBB4_99
	s_branch .LBB4_103
	.p2align	6
.LBB4_102:                              ;   in Loop: Header=BB4_100 Depth=4
                                        ; implicit-def: $vgpr10
.LBB4_103:                              ;   in Loop: Header=BB4_100 Depth=4
	v_add_nc_u32_e32 v10, v27, v29
	s_branch .LBB4_99
.LBB4_104:                              ;   in Loop: Header=BB4_83 Depth=2
	s_inst_prefetch 0x2
	s_or_b32 exec_lo, exec_lo, s35
	s_waitcnt lgkmcnt(0)
	v_mul_lo_u32 v25, v25, s23
	v_mov_b32_e32 v26, v22
	v_mov_b32_e32 v9, v0
	s_mov_b32 s35, 0
	s_waitcnt_vscnt null, 0x0
	buffer_gl0_inv
	s_branch .LBB4_106
.LBB4_105:                              ;   in Loop: Header=BB4_106 Depth=3
	s_inst_prefetch 0x2
	s_or_b32 exec_lo, exec_lo, s44
	v_add_nc_u32_e32 v9, 32, v9
	v_add_nc_u32_e32 v26, 0x80, v26
	v_cmp_le_i32_e32 vcc_lo, s23, v9
	s_or_b32 s35, vcc_lo, s35
	s_andn2_b32 exec_lo, exec_lo, s35
	s_cbranch_execz .LBB4_80
.LBB4_106:                              ;   Parent Loop BB4_13 Depth=1
                                        ;     Parent Loop BB4_83 Depth=2
                                        ; =>    This Loop Header: Depth=3
                                        ;         Child Loop BB4_109 Depth 4
                                        ;           Child Loop BB4_110 Depth 5
	s_and_saveexec_b32 s44, s2
	s_cbranch_execz .LBB4_105
; %bb.107:                              ;   in Loop: Header=BB4_106 Depth=3
	v_add_nc_u32_e32 v10, v9, v25
	v_mov_b32_e32 v28, v17
	v_mov_b32_e32 v29, v1
	s_mov_b32 s45, 0
	v_mul_lo_u32 v27, v10, s23
	s_inst_prefetch 0x1
	s_branch .LBB4_109
	.p2align	6
.LBB4_108:                              ;   in Loop: Header=BB4_109 Depth=4
	v_ashrrev_i32_e32 v11, 31, v10
	v_add_nc_u32_e32 v29, 2, v29
	v_add_nc_u32_e32 v28, 0x108, v28
	v_lshlrev_b64 v[10:11], 2, v[10:11]
	v_add_co_u32 v10, vcc_lo, s12, v10
	v_add_co_ci_u32_e64 v11, null, s13, v11, vcc_lo
	v_cmp_le_i32_e32 vcc_lo, s23, v29
	global_load_dword v31, v[10:11], off
	s_or_b32 s45, vcc_lo, s45
	s_waitcnt vmcnt(0)
	v_sub_f32_e32 v30, v31, v30
	global_store_dword v[10:11], v30, off
	s_andn2_b32 exec_lo, exec_lo, s45
	s_cbranch_execz .LBB4_105
.LBB4_109:                              ;   Parent Loop BB4_13 Depth=1
                                        ;     Parent Loop BB4_83 Depth=2
                                        ;       Parent Loop BB4_106 Depth=3
                                        ; =>      This Loop Header: Depth=4
                                        ;           Child Loop BB4_110 Depth 5
	v_mov_b32_e32 v30, 0
	v_mov_b32_e32 v10, v26
	;; [unrolled: 1-line block ×3, first 2 shown]
	s_mov_b32 s46, s23
.LBB4_110:                              ;   Parent Loop BB4_13 Depth=1
                                        ;     Parent Loop BB4_83 Depth=2
                                        ;       Parent Loop BB4_106 Depth=3
                                        ;         Parent Loop BB4_109 Depth=4
                                        ; =>        This Inner Loop Header: Depth=5
	ds_read_b32 v31, v10
	ds_read_b32 v32, v11
	v_add_nc_u32_e32 v11, 4, v11
	v_add_nc_u32_e32 v10, 0x84, v10
	s_add_i32 s46, s46, -1
	s_cmp_eq_u32 s46, 0
	s_waitcnt lgkmcnt(0)
	v_fmac_f32_e32 v30, v31, v32
	s_cbranch_scc0 .LBB4_110
; %bb.111:                              ;   in Loop: Header=BB4_109 Depth=4
	s_and_b32 vcc_lo, exec_lo, s29
	s_cbranch_vccz .LBB4_113
; %bb.112:                              ;   in Loop: Header=BB4_109 Depth=4
	v_add_nc_u32_e32 v10, v29, v25
	v_mad_u64_u32 v[10:11], null, v10, s23, v[9:10]
	s_cbranch_execnz .LBB4_108
	s_branch .LBB4_114
.LBB4_113:                              ;   in Loop: Header=BB4_109 Depth=4
                                        ; implicit-def: $vgpr10
.LBB4_114:                              ;   in Loop: Header=BB4_109 Depth=4
	v_add_nc_u32_e32 v10, v29, v27
	s_branch .LBB4_108
.LBB4_115:
	s_ashr_i32 s29, s28, 31
	v_mov_b32_e32 v4, 0
	s_lshl_b64 s[0:1], s[28:29], 2
	s_add_u32 s0, s10, s0
	s_addc_u32 s1, s11, s1
	global_load_dword v4, v4, s[0:1]
	s_waitcnt vmcnt(0)
	v_subrev_nc_u32_e32 v4, s24, v4
	v_cmp_ne_u32_e32 vcc_lo, s22, v4
	s_cbranch_vccnz .LBB4_160
; %bb.116:
	v_cmp_gt_i32_e64 s0, s23, v0
	s_and_saveexec_b32 s2, s0
	s_cbranch_execz .LBB4_127
; %bb.117:
	s_mul_i32 s3, s28, s23
	v_lshlrev_b32_e32 v5, 2, v0
	v_add_nc_u32_e32 v4, s3, v0
	v_cmp_gt_u32_e64 s1, s23, v1
	s_cmp_lg_u32 s30, 0
	s_mov_b32 s4, 0
	v_mad_u32_u24 v8, 0x84, v1, v5
	v_mul_lo_u32 v7, s23, v4
	v_mov_b32_e32 v4, v0
	s_cselect_b32 s5, -1, 0
	s_lshl_b32 s6, s23, 5
	s_inst_prefetch 0x1
	s_branch .LBB4_119
	.p2align	6
.LBB4_118:                              ;   in Loop: Header=BB4_119 Depth=1
	s_or_b32 exec_lo, exec_lo, s7
	v_add_nc_u32_e32 v4, 32, v4
	v_add_nc_u32_e32 v7, s6, v7
	;; [unrolled: 1-line block ×3, first 2 shown]
	v_cmp_le_i32_e32 vcc_lo, s23, v4
	s_or_b32 s4, vcc_lo, s4
	s_andn2_b32 exec_lo, exec_lo, s4
	s_cbranch_execz .LBB4_127
.LBB4_119:                              ; =>This Loop Header: Depth=1
                                        ;     Child Loop BB4_122 Depth 2
	s_and_saveexec_b32 s7, s1
	s_cbranch_execz .LBB4_118
; %bb.120:                              ;   in Loop: Header=BB4_119 Depth=1
	v_mov_b32_e32 v9, v8
	v_mov_b32_e32 v10, v1
	s_mov_b32 s8, 0
	s_branch .LBB4_122
	.p2align	6
.LBB4_121:                              ;   in Loop: Header=BB4_122 Depth=2
	v_ashrrev_i32_e32 v6, 31, v5
	v_add_nc_u32_e32 v10, 2, v10
	v_lshlrev_b64 v[5:6], 2, v[5:6]
	v_add_co_u32 v5, vcc_lo, s12, v5
	v_add_co_ci_u32_e64 v6, null, s13, v6, vcc_lo
	v_cmp_le_i32_e32 vcc_lo, s23, v10
	global_load_dword v5, v[5:6], off
	s_or_b32 s8, vcc_lo, s8
	s_waitcnt vmcnt(0)
	ds_write_b32 v9, v5
	v_add_nc_u32_e32 v9, 0x108, v9
	s_andn2_b32 exec_lo, exec_lo, s8
	s_cbranch_execz .LBB4_118
.LBB4_122:                              ;   Parent Loop BB4_119 Depth=1
                                        ; =>  This Inner Loop Header: Depth=2
	s_and_b32 vcc_lo, exec_lo, s5
	s_cbranch_vccz .LBB4_124
; %bb.123:                              ;   in Loop: Header=BB4_122 Depth=2
	v_add_nc_u32_e32 v5, s3, v10
	v_mad_u64_u32 v[5:6], null, v5, s23, v[4:5]
	s_cbranch_execnz .LBB4_121
	s_branch .LBB4_125
	.p2align	6
.LBB4_124:                              ;   in Loop: Header=BB4_122 Depth=2
                                        ; implicit-def: $vgpr5
.LBB4_125:                              ;   in Loop: Header=BB4_122 Depth=2
	v_add_nc_u32_e32 v5, v7, v10
	s_branch .LBB4_121
.LBB4_126:
	s_mov_b32 s33, -1
	s_branch .LBB4_212
.LBB4_127:
	s_inst_prefetch 0x2
	s_or_b32 exec_lo, exec_lo, s2
	s_cmp_lt_i32 s23, 1
	s_waitcnt lgkmcnt(0)
	s_waitcnt_vscnt null, 0x0
	buffer_gl0_inv
	s_cbranch_scc1 .LBB4_149
; %bb.128:
	v_cvt_f64_f32_e32 v[6:7], v13
	v_or_b32_e32 v5, v0, v1
	v_mul_u32_u24_e32 v8, 0x84, v1
	v_lshlrev_b32_e32 v9, 2, v0
	s_cmp_eq_u64 s[16:17], 8
	v_cmp_eq_u32_e64 s1, 0, v1
	s_cselect_b32 vcc_lo, -1, 0
	v_mad_u32_u24 v4, 0x84, v1, 0x84
	v_cmp_eq_u32_e64 s2, 0, v5
	v_add3_u32 v5, v8, v9, 0x88
	s_mov_b32 s4, 0
	v_cndmask_b32_e32 v3, v7, v3, vcc_lo
	v_cndmask_b32_e32 v2, v6, v2, vcc_lo
.LBB4_129:                              ; =>This Loop Header: Depth=1
                                        ;     Child Loop BB4_141 Depth 2
                                        ;       Child Loop BB4_145 Depth 3
	s_mul_i32 s5, s4, 0x84
	s_lshl_b32 s3, s4, 2
	s_mov_b32 s7, -1
	s_add_i32 s6, s5, s3
	s_andn2_b32 vcc_lo, exec_lo, s36
	v_mov_b32_e32 v6, s6
	s_mov_b32 s3, 0
	s_waitcnt lgkmcnt(0)
	ds_read_b32 v7, v6
                                        ; implicit-def: $vgpr6
	s_cbranch_vccz .LBB4_134
; %bb.130:                              ;   in Loop: Header=BB4_129 Depth=1
	s_andn2_b32 vcc_lo, exec_lo, s7
	s_mov_b32 s7, 0
	s_cbranch_vccz .LBB4_137
.LBB4_131:                              ;   in Loop: Header=BB4_129 Depth=1
	s_andn2_b32 vcc_lo, exec_lo, s3
                                        ; implicit-def: $sgpr6
	s_cbranch_vccz .LBB4_138
.LBB4_132:                              ;   in Loop: Header=BB4_129 Depth=1
	s_andn2_b32 vcc_lo, exec_lo, s7
	s_cbranch_vccz .LBB4_147
.LBB4_133:                              ;   in Loop: Header=BB4_129 Depth=1
	v_add_nc_u32_e32 v5, 0x88, v5
	v_add_nc_u32_e32 v4, 0x88, v4
	s_cmp_eq_u32 s6, s23
	s_cbranch_scc0 .LBB4_148
	s_branch .LBB4_149
.LBB4_134:                              ;   in Loop: Header=BB4_129 Depth=1
	s_waitcnt lgkmcnt(0)
	v_cmp_gt_f32_e32 vcc_lo, 0, v7
	buffer_gl0_inv
	v_cndmask_b32_e64 v6, v7, -v7, vcc_lo
	v_cvt_f64_f32_e32 v[8:9], v6
	v_cmp_ge_f64_e32 vcc_lo, v[2:3], v[8:9]
	v_cndmask_b32_e32 v6, v7, v12, vcc_lo
	s_and_saveexec_b32 s3, s2
; %bb.135:                              ;   in Loop: Header=BB4_129 Depth=1
	v_mov_b32_e32 v8, s6
	ds_write_b32 v8, v6
; %bb.136:                              ;   in Loop: Header=BB4_129 Depth=1
	s_or_b32 exec_lo, exec_lo, s3
	s_mov_b32 s3, -1
	s_mov_b32 s7, 0
	s_cbranch_execnz .LBB4_131
.LBB4_137:                              ;   in Loop: Header=BB4_129 Depth=1
	s_waitcnt lgkmcnt(0)
	v_cmp_neq_f32_e64 s3, 0, v7
	v_mov_b32_e32 v6, v7
	s_mov_b32 s7, -1
	s_andn2_b32 vcc_lo, exec_lo, s3
                                        ; implicit-def: $sgpr6
	s_cbranch_vccnz .LBB4_132
.LBB4_138:                              ;   in Loop: Header=BB4_129 Depth=1
	s_add_i32 s6, s4, 1
	s_mov_b32 s7, exec_lo
	s_waitcnt lgkmcnt(0)
	v_add_nc_u32_e32 v7, s6, v0
	v_cmpx_gt_i32_e64 s23, v7
	s_cbranch_execz .LBB4_146
; %bb.139:                              ;   in Loop: Header=BB4_129 Depth=1
	v_add_nc_u32_e32 v8, s6, v1
	v_mov_b32_e32 v9, v5
	s_mov_b32 s8, 0
	v_cmp_gt_i32_e64 s3, s23, v8
	s_branch .LBB4_141
.LBB4_140:                              ;   in Loop: Header=BB4_141 Depth=2
	s_or_b32 exec_lo, exec_lo, s9
	v_add_nc_u32_e32 v7, 32, v7
	v_add_nc_u32_e32 v9, 0x80, v9
	v_cmp_le_i32_e32 vcc_lo, s23, v7
	s_or_b32 s8, vcc_lo, s8
	s_andn2_b32 exec_lo, exec_lo, s8
	s_cbranch_execz .LBB4_146
.LBB4_141:                              ;   Parent Loop BB4_129 Depth=1
                                        ; =>  This Loop Header: Depth=2
                                        ;       Child Loop BB4_145 Depth 3
	v_lshl_add_u32 v11, v7, 2, s5
	ds_read_b32 v10, v11
	s_waitcnt lgkmcnt(0)
	buffer_gl0_inv
	v_div_scale_f32 v13, null, v6, v6, v10
	v_rcp_f32_e32 v14, v13
	v_fma_f32 v15, -v13, v14, 1.0
	v_fmac_f32_e32 v14, v15, v14
	v_div_scale_f32 v15, vcc_lo, v10, v6, v10
	v_mul_f32_e32 v16, v15, v14
	v_fma_f32 v17, -v13, v16, v15
	v_fmac_f32_e32 v16, v17, v14
	v_fma_f32 v13, -v13, v16, v15
	v_div_fmas_f32 v13, v13, v14, v16
	v_div_fixup_f32 v10, v13, v6, v10
	s_and_saveexec_b32 s9, s1
; %bb.142:                              ;   in Loop: Header=BB4_141 Depth=2
	ds_write_b32 v11, v10
; %bb.143:                              ;   in Loop: Header=BB4_141 Depth=2
	s_or_b32 exec_lo, exec_lo, s9
	s_and_saveexec_b32 s9, s3
	s_cbranch_execz .LBB4_140
; %bb.144:                              ;   in Loop: Header=BB4_141 Depth=2
	v_mov_b32_e32 v11, v4
	v_mov_b32_e32 v13, v9
	;; [unrolled: 1-line block ×3, first 2 shown]
	s_mov_b32 s10, 0
	.p2align	6
.LBB4_145:                              ;   Parent Loop BB4_129 Depth=1
                                        ;     Parent Loop BB4_141 Depth=2
                                        ; =>    This Inner Loop Header: Depth=3
	ds_read_b32 v15, v11
	ds_read_b32 v16, v13
	v_add_nc_u32_e32 v14, 2, v14
	v_add_nc_u32_e32 v11, 0x108, v11
	v_cmp_le_i32_e32 vcc_lo, s23, v14
	s_or_b32 s10, vcc_lo, s10
	s_waitcnt lgkmcnt(0)
	v_fma_f32 v15, -v10, v15, v16
	ds_write_b32 v13, v15
	v_add_nc_u32_e32 v13, 0x108, v13
	s_andn2_b32 exec_lo, exec_lo, s10
	s_cbranch_execnz .LBB4_145
	s_branch .LBB4_140
.LBB4_146:                              ;   in Loop: Header=BB4_129 Depth=1
	s_or_b32 exec_lo, exec_lo, s7
	s_cbranch_execnz .LBB4_133
.LBB4_147:                              ;   in Loop: Header=BB4_129 Depth=1
	s_add_i32 s6, s4, 1
	s_mov_b32 s33, -1
	v_add_nc_u32_e32 v5, 0x88, v5
	v_add_nc_u32_e32 v4, 0x88, v4
	s_cmp_eq_u32 s6, s23
	s_cbranch_scc1 .LBB4_149
.LBB4_148:                              ;   in Loop: Header=BB4_129 Depth=1
	s_mov_b32 s4, s6
	s_branch .LBB4_129
.LBB4_149:
	s_waitcnt lgkmcnt(0)
	buffer_gl0_inv
	s_and_saveexec_b32 s2, s0
	s_cbranch_execz .LBB4_159
; %bb.150:
	s_mul_i32 s3, s28, s23
	v_lshlrev_b32_e32 v3, 2, v0
	v_add_nc_u32_e32 v2, s3, v0
	v_cmp_gt_u32_e64 s0, s23, v1
	s_cmp_lg_u32 s30, 0
	s_mov_b32 s4, 0
	v_mad_u32_u24 v6, 0x84, v1, v3
	v_mul_lo_u32 v5, s23, v2
	v_mov_b32_e32 v2, v0
	s_cselect_b32 s5, -1, 0
	s_lshl_b32 s6, s23, 5
	s_inst_prefetch 0x1
	s_branch .LBB4_152
	.p2align	6
.LBB4_151:                              ;   in Loop: Header=BB4_152 Depth=1
	s_or_b32 exec_lo, exec_lo, s7
	v_add_nc_u32_e32 v2, 32, v2
	v_add_nc_u32_e32 v5, s6, v5
	;; [unrolled: 1-line block ×3, first 2 shown]
	v_cmp_le_i32_e32 vcc_lo, s23, v2
	s_or_b32 s4, vcc_lo, s4
	s_andn2_b32 exec_lo, exec_lo, s4
	s_cbranch_execz .LBB4_159
.LBB4_152:                              ; =>This Loop Header: Depth=1
                                        ;     Child Loop BB4_155 Depth 2
	s_and_saveexec_b32 s7, s0
	s_cbranch_execz .LBB4_151
; %bb.153:                              ;   in Loop: Header=BB4_152 Depth=1
	v_mov_b32_e32 v7, v6
	v_mov_b32_e32 v8, v1
	s_mov_b32 s8, 0
	s_branch .LBB4_155
	.p2align	6
.LBB4_154:                              ;   in Loop: Header=BB4_155 Depth=2
	v_ashrrev_i32_e32 v4, 31, v3
	v_add_nc_u32_e32 v8, 2, v8
	v_add_nc_u32_e32 v7, 0x108, v7
	v_lshlrev_b64 v[3:4], 2, v[3:4]
	v_cmp_le_i32_e32 vcc_lo, s23, v8
	s_or_b32 s8, vcc_lo, s8
	v_add_co_u32 v3, s1, s12, v3
	v_add_co_ci_u32_e64 v4, null, s13, v4, s1
	s_waitcnt lgkmcnt(0)
	global_store_dword v[3:4], v9, off
	s_andn2_b32 exec_lo, exec_lo, s8
	s_cbranch_execz .LBB4_151
.LBB4_155:                              ;   Parent Loop BB4_152 Depth=1
                                        ; =>  This Inner Loop Header: Depth=2
	ds_read_b32 v9, v7
	s_and_b32 vcc_lo, exec_lo, s5
	s_cbranch_vccz .LBB4_157
; %bb.156:                              ;   in Loop: Header=BB4_155 Depth=2
	v_add_nc_u32_e32 v3, s3, v8
	v_mad_u64_u32 v[3:4], null, v3, s23, v[2:3]
	s_cbranch_execnz .LBB4_154
	s_branch .LBB4_158
	.p2align	6
.LBB4_157:                              ;   in Loop: Header=BB4_155 Depth=2
                                        ; implicit-def: $vgpr3
.LBB4_158:                              ;   in Loop: Header=BB4_155 Depth=2
	v_add_nc_u32_e32 v3, v5, v8
	s_branch .LBB4_154
.LBB4_159:
	s_inst_prefetch 0x2
	s_or_b32 exec_lo, exec_lo, s2
.LBB4_160:
	s_add_i32 s4, s28, 1
	s_cmp_ge_i32 s4, s25
	s_cbranch_scc1 .LBB4_212
; %bb.161:
	v_mad_u64_u32 v[2:3], null, s23, s4, v[0:1]
	v_lshlrev_b32_e32 v3, 2, v1
	s_cmp_lg_u32 s30, 0
	v_mul_u32_u24_e32 v4, 0x84, v1
	s_cselect_b32 s5, -1, 0
	s_cmp_gt_i32 s23, 0
	v_lshlrev_b32_e32 v5, 2, v0
	s_cselect_b32 s6, -1, 0
	s_cmp_lg_u32 s23, 1
	v_mad_u32_u24 v11, 0x84, v0, v3
	s_cselect_b32 s7, -1, 0
	s_and_b32 s8, s23, 0x7ffffffe
	s_bitcmp1_b32 s23, 0
	s_movk_i32 s3, 0x1084
	v_cmp_gt_i32_e64 s0, s23, v0
	v_cmp_le_i32_e64 s1, s23, v0
	v_cmp_gt_i32_e64 s2, s23, v1
	v_add_nc_u32_e32 v6, 1, v1
	v_mul_lo_u32 v7, s23, v2
	v_add3_u32 v8, v4, v5, 0x1080
	v_add_nc_u32_e32 v9, 0x1084, v11
	v_add_nc_u32_e32 v2, 4, v3
	;; [unrolled: 1-line block ×4, first 2 shown]
	v_mad_u32_u24 v12, 0x84, v0, s3
	s_cselect_b32 s9, -1, 0
	s_mul_i32 s10, s23, s23
	s_lshl_b32 s11, s23, 5
	s_branch .LBB4_164
.LBB4_162:                              ;   in Loop: Header=BB4_164 Depth=1
	s_inst_prefetch 0x2
	s_or_b32 exec_lo, exec_lo, s15
.LBB4_163:                              ;   in Loop: Header=BB4_164 Depth=1
	s_or_b32 exec_lo, exec_lo, s14
	v_add_nc_u32_e32 v7, s10, v7
	s_add_i32 s4, s4, 1
	s_cmp_ge_i32 s4, s25
	s_cbranch_scc1 .LBB4_212
.LBB4_164:                              ; =>This Loop Header: Depth=1
                                        ;     Child Loop BB4_167 Depth 2
                                        ;       Child Loop BB4_170 Depth 3
                                        ;     Child Loop BB4_178 Depth 2
                                        ;       Child Loop BB4_181 Depth 3
                                        ;         Child Loop BB4_183 Depth 4
                                        ;       Child Loop BB4_186 Depth 3
                                        ;         Child Loop BB4_188 Depth 4
                                        ;     Child Loop BB4_195 Depth 2
                                        ;       Child Loop BB4_197 Depth 3
                                        ;     Child Loop BB4_205 Depth 2
                                        ;       Child Loop BB4_208 Depth 3
	s_waitcnt lgkmcnt(0)
	s_waitcnt_vscnt null, 0x0
	buffer_gl0_inv
	s_and_saveexec_b32 s3, s0
	s_cbranch_execz .LBB4_174
; %bb.165:                              ;   in Loop: Header=BB4_164 Depth=1
	v_mov_b32_e32 v13, v8
	v_mov_b32_e32 v14, v7
	;; [unrolled: 1-line block ×3, first 2 shown]
	s_mul_i32 s14, s4, s23
	s_mov_b32 s15, 0
	s_inst_prefetch 0x1
	s_branch .LBB4_167
	.p2align	6
.LBB4_166:                              ;   in Loop: Header=BB4_167 Depth=2
	s_or_b32 exec_lo, exec_lo, s16
	v_add_nc_u32_e32 v3, 32, v3
	v_add_nc_u32_e32 v14, s11, v14
	;; [unrolled: 1-line block ×3, first 2 shown]
	v_cmp_le_i32_e32 vcc_lo, s23, v3
	s_or_b32 s15, vcc_lo, s15
	s_andn2_b32 exec_lo, exec_lo, s15
	s_cbranch_execz .LBB4_174
.LBB4_167:                              ;   Parent Loop BB4_164 Depth=1
                                        ; =>  This Loop Header: Depth=2
                                        ;       Child Loop BB4_170 Depth 3
	s_and_saveexec_b32 s16, s2
	s_cbranch_execz .LBB4_166
; %bb.168:                              ;   in Loop: Header=BB4_167 Depth=2
	v_mov_b32_e32 v15, v13
	v_mov_b32_e32 v16, v1
	s_mov_b32 s17, 0
	s_branch .LBB4_170
	.p2align	6
.LBB4_169:                              ;   in Loop: Header=BB4_170 Depth=3
	v_ashrrev_i32_e32 v5, 31, v4
	v_add_nc_u32_e32 v16, 2, v16
	v_lshlrev_b64 v[4:5], 2, v[4:5]
	v_add_co_u32 v4, vcc_lo, s12, v4
	v_add_co_ci_u32_e64 v5, null, s13, v5, vcc_lo
	v_cmp_le_i32_e32 vcc_lo, s23, v16
	global_load_dword v4, v[4:5], off
	s_or_b32 s17, vcc_lo, s17
	s_waitcnt vmcnt(0)
	ds_write_b32 v15, v4
	v_add_nc_u32_e32 v15, 0x108, v15
	s_andn2_b32 exec_lo, exec_lo, s17
	s_cbranch_execz .LBB4_166
.LBB4_170:                              ;   Parent Loop BB4_164 Depth=1
                                        ;     Parent Loop BB4_167 Depth=2
                                        ; =>    This Inner Loop Header: Depth=3
	s_and_b32 vcc_lo, exec_lo, s5
	s_cbranch_vccz .LBB4_172
; %bb.171:                              ;   in Loop: Header=BB4_170 Depth=3
	v_add_nc_u32_e32 v4, s14, v16
	v_mad_u64_u32 v[4:5], null, v4, s23, v[3:4]
	s_cbranch_execnz .LBB4_169
	s_branch .LBB4_173
	.p2align	6
.LBB4_172:                              ;   in Loop: Header=BB4_170 Depth=3
                                        ; implicit-def: $vgpr4
.LBB4_173:                              ;   in Loop: Header=BB4_170 Depth=3
	v_add_nc_u32_e32 v4, v14, v16
	s_branch .LBB4_169
.LBB4_174:                              ;   in Loop: Header=BB4_164 Depth=1
	s_inst_prefetch 0x2
	s_or_b32 exec_lo, exec_lo, s3
	s_andn2_b32 vcc_lo, exec_lo, s6
	s_waitcnt lgkmcnt(0)
	buffer_gl0_inv
	s_cbranch_vccnz .LBB4_198
; %bb.175:                              ;   in Loop: Header=BB4_164 Depth=1
	s_andn2_b32 vcc_lo, exec_lo, s7
	s_mov_b32 s3, 0
	s_cbranch_vccnz .LBB4_189
; %bb.176:                              ;   in Loop: Header=BB4_164 Depth=1
	v_mov_b32_e32 v3, v11
	v_mov_b32_e32 v4, v10
	;; [unrolled: 1-line block ×4, first 2 shown]
	s_mov_b32 s14, 0
	s_branch .LBB4_178
.LBB4_177:                              ;   in Loop: Header=BB4_178 Depth=2
	s_inst_prefetch 0x2
	s_or_b32 exec_lo, exec_lo, s15
	v_add_nc_u32_e32 v13, 8, v13
	v_add_nc_u32_e32 v5, 0x110, v5
	;; [unrolled: 1-line block ×4, first 2 shown]
	s_add_i32 s14, s14, 2
	s_mov_b32 s3, s8
	s_cmp_eq_u32 s14, s8
	s_cbranch_scc1 .LBB4_189
.LBB4_178:                              ;   Parent Loop BB4_164 Depth=1
                                        ; =>  This Loop Header: Depth=2
                                        ;       Child Loop BB4_181 Depth 3
                                        ;         Child Loop BB4_183 Depth 4
                                        ;       Child Loop BB4_186 Depth 3
                                        ;         Child Loop BB4_188 Depth 4
	s_and_saveexec_b32 s15, s0
	s_cbranch_execz .LBB4_177
; %bb.179:                              ;   in Loop: Header=BB4_178 Depth=2
	v_add_nc_u32_e32 v14, s14, v6
	v_mov_b32_e32 v15, v13
	v_mov_b32_e32 v16, v0
	s_mov_b32 s17, 0
	s_lshl_b32 s16, s14, 2
	v_cmp_gt_i32_e32 vcc_lo, s23, v14
	s_inst_prefetch 0x1
	s_branch .LBB4_181
	.p2align	6
.LBB4_180:                              ;   in Loop: Header=BB4_181 Depth=3
	s_or_b32 exec_lo, exec_lo, s28
	v_add_nc_u32_e32 v16, 32, v16
	v_add_nc_u32_e32 v15, 0x1080, v15
	v_cmp_le_i32_e64 s3, s23, v16
	s_or_b32 s17, s3, s17
	s_andn2_b32 exec_lo, exec_lo, s17
	s_cbranch_execz .LBB4_184
.LBB4_181:                              ;   Parent Loop BB4_164 Depth=1
                                        ;     Parent Loop BB4_178 Depth=2
                                        ; =>    This Loop Header: Depth=3
                                        ;         Child Loop BB4_183 Depth 4
	s_and_saveexec_b32 s28, vcc_lo
	s_cbranch_execz .LBB4_180
; %bb.182:                              ;   in Loop: Header=BB4_181 Depth=3
	v_mul_lo_u32 v19, 0x84, v16
	v_mov_b32_e32 v17, v5
	v_mov_b32_e32 v18, v15
	;; [unrolled: 1-line block ×3, first 2 shown]
	s_mov_b32 s29, 0
	v_add3_u32 v19, 0x1080, s16, v19
	.p2align	6
.LBB4_183:                              ;   Parent Loop BB4_164 Depth=1
                                        ;     Parent Loop BB4_178 Depth=2
                                        ;       Parent Loop BB4_181 Depth=3
                                        ; =>      This Inner Loop Header: Depth=4
	ds_read_b32 v21, v17
	ds_read_b32 v22, v19
	;; [unrolled: 1-line block ×3, first 2 shown]
	v_add_nc_u32_e32 v20, 2, v20
	v_add_nc_u32_e32 v17, 8, v17
	v_cmp_le_i32_e64 s3, s23, v20
	s_or_b32 s29, s3, s29
	s_waitcnt lgkmcnt(0)
	v_fma_f32 v21, -v21, v22, v23
	ds_write_b32 v18, v21
	v_add_nc_u32_e32 v18, 8, v18
	s_andn2_b32 exec_lo, exec_lo, s29
	s_cbranch_execnz .LBB4_183
	s_branch .LBB4_180
.LBB4_184:                              ;   in Loop: Header=BB4_178 Depth=2
	s_inst_prefetch 0x2
	s_or_b32 exec_lo, exec_lo, s17
	v_add3_u32 v14, v6, s14, 1
	v_mov_b32_e32 v15, v3
	v_mov_b32_e32 v16, v0
	s_mov_b32 s17, 0
	v_cmp_gt_i32_e32 vcc_lo, s23, v14
	s_inst_prefetch 0x1
	s_branch .LBB4_186
	.p2align	6
.LBB4_185:                              ;   in Loop: Header=BB4_186 Depth=3
	s_or_b32 exec_lo, exec_lo, s28
	v_add_nc_u32_e32 v16, 32, v16
	v_add_nc_u32_e32 v15, 0x1080, v15
	v_cmp_le_i32_e64 s3, s23, v16
	s_or_b32 s17, s3, s17
	s_andn2_b32 exec_lo, exec_lo, s17
	s_cbranch_execz .LBB4_177
.LBB4_186:                              ;   Parent Loop BB4_164 Depth=1
                                        ;     Parent Loop BB4_178 Depth=2
                                        ; =>    This Loop Header: Depth=3
                                        ;         Child Loop BB4_188 Depth 4
	s_and_saveexec_b32 s28, vcc_lo
	s_cbranch_execz .LBB4_185
; %bb.187:                              ;   in Loop: Header=BB4_186 Depth=3
	v_mul_lo_u32 v19, 0x84, v16
	v_mov_b32_e32 v17, v15
	v_mov_b32_e32 v18, v4
	;; [unrolled: 1-line block ×3, first 2 shown]
	s_mov_b32 s29, 0
	v_add3_u32 v19, 0x1080, s16, v19
	.p2align	6
.LBB4_188:                              ;   Parent Loop BB4_164 Depth=1
                                        ;     Parent Loop BB4_178 Depth=2
                                        ;       Parent Loop BB4_186 Depth=3
                                        ; =>      This Inner Loop Header: Depth=4
	ds_read_b32 v21, v18
	ds_read_b32 v22, v19 offset:4
	ds_read_b32 v23, v17
	v_add_nc_u32_e32 v20, 2, v20
	v_add_nc_u32_e32 v18, 8, v18
	v_cmp_le_i32_e64 s3, s23, v20
	s_or_b32 s29, s3, s29
	s_waitcnt lgkmcnt(0)
	v_fma_f32 v21, -v21, v22, v23
	ds_write_b32 v17, v21
	v_add_nc_u32_e32 v17, 8, v17
	s_andn2_b32 exec_lo, exec_lo, s29
	s_cbranch_execnz .LBB4_188
	s_branch .LBB4_185
.LBB4_189:                              ;   in Loop: Header=BB4_164 Depth=1
	s_andn2_b32 vcc_lo, exec_lo, s9
	s_mov_b32 s15, -1
	s_cbranch_vccnz .LBB4_199
; %bb.190:                              ;   in Loop: Header=BB4_164 Depth=1
	s_and_saveexec_b32 s14, s1
	s_xor_b32 s14, exec_lo, s14
	s_cbranch_execz .LBB4_192
; %bb.191:                              ;   in Loop: Header=BB4_164 Depth=1
	s_waitcnt lgkmcnt(0)
	buffer_gl0_inv
.LBB4_192:                              ;   in Loop: Header=BB4_164 Depth=1
	s_or_saveexec_b32 s14, s14
	s_mov_b32 s15, 0
	s_xor_b32 exec_lo, exec_lo, s14
	s_cbranch_execz .LBB4_201
; %bb.193:                              ;   in Loop: Header=BB4_164 Depth=1
	v_add_nc_u32_e32 v13, s3, v1
	v_mad_u64_u32 v[3:4], null, 0x88, s3, v[2:3]
	v_add_nc_u32_e32 v5, s3, v6
	s_lshl_b32 s16, s3, 2
	v_lshl_add_u32 v4, v13, 2, v12
	v_mov_b32_e32 v13, v0
	v_cmp_gt_i32_e32 vcc_lo, s23, v5
	s_inst_prefetch 0x1
	s_branch .LBB4_195
	.p2align	6
.LBB4_194:                              ;   in Loop: Header=BB4_195 Depth=2
	s_or_b32 exec_lo, exec_lo, s17
	v_add_nc_u32_e32 v13, 32, v13
	v_add_nc_u32_e32 v4, 0x1080, v4
	v_cmp_le_i32_e64 s3, s23, v13
	s_or_b32 s15, s3, s15
	s_andn2_b32 exec_lo, exec_lo, s15
	s_cbranch_execz .LBB4_200
.LBB4_195:                              ;   Parent Loop BB4_164 Depth=1
                                        ; =>  This Loop Header: Depth=2
                                        ;       Child Loop BB4_197 Depth 3
	s_and_saveexec_b32 s17, vcc_lo
	s_cbranch_execz .LBB4_194
; %bb.196:                              ;   in Loop: Header=BB4_195 Depth=2
	v_mul_lo_u32 v16, 0x84, v13
	v_mov_b32_e32 v14, v3
	v_mov_b32_e32 v15, v4
	v_mov_b32_e32 v17, v5
	s_mov_b32 s28, 0
	v_add3_u32 v16, 0x1080, s16, v16
	.p2align	6
.LBB4_197:                              ;   Parent Loop BB4_164 Depth=1
                                        ;     Parent Loop BB4_195 Depth=2
                                        ; =>    This Inner Loop Header: Depth=3
	ds_read_b32 v18, v14
	ds_read_b32 v19, v16
	;; [unrolled: 1-line block ×3, first 2 shown]
	v_add_nc_u32_e32 v17, 2, v17
	v_add_nc_u32_e32 v14, 8, v14
	v_cmp_le_i32_e64 s3, s23, v17
	s_or_b32 s28, s3, s28
	s_waitcnt lgkmcnt(0)
	v_fma_f32 v18, -v18, v19, v20
	ds_write_b32 v15, v18
	v_add_nc_u32_e32 v15, 8, v15
	s_andn2_b32 exec_lo, exec_lo, s28
	s_cbranch_execnz .LBB4_197
	s_branch .LBB4_194
.LBB4_198:                              ;   in Loop: Header=BB4_164 Depth=1
	s_mov_b32 s15, -1
.LBB4_199:                              ;   in Loop: Header=BB4_164 Depth=1
	s_and_saveexec_b32 s3, s15
	s_xor_b32 s14, exec_lo, s3
	s_cbranch_execz .LBB4_163
	s_branch .LBB4_202
.LBB4_200:                              ;   in Loop: Header=BB4_164 Depth=1
	s_inst_prefetch 0x2
	s_or_b32 exec_lo, exec_lo, s15
	s_mov_b32 s15, exec_lo
.LBB4_201:                              ;   in Loop: Header=BB4_164 Depth=1
	s_or_b32 exec_lo, exec_lo, s14
	s_and_saveexec_b32 s3, s15
	s_xor_b32 s14, exec_lo, s3
	s_cbranch_execz .LBB4_163
.LBB4_202:                              ;   in Loop: Header=BB4_164 Depth=1
	s_waitcnt lgkmcnt(0)
	buffer_gl0_inv
	s_and_saveexec_b32 s15, s0
	s_cbranch_execz .LBB4_162
; %bb.203:                              ;   in Loop: Header=BB4_164 Depth=1
	v_mov_b32_e32 v13, v8
	v_mov_b32_e32 v14, v7
	;; [unrolled: 1-line block ×3, first 2 shown]
	s_mul_i32 s16, s4, s23
	s_mov_b32 s17, 0
	s_inst_prefetch 0x1
	s_branch .LBB4_205
	.p2align	6
.LBB4_204:                              ;   in Loop: Header=BB4_205 Depth=2
	s_or_b32 exec_lo, exec_lo, s28
	v_add_nc_u32_e32 v3, 32, v3
	v_add_nc_u32_e32 v14, s11, v14
	;; [unrolled: 1-line block ×3, first 2 shown]
	v_cmp_le_i32_e32 vcc_lo, s23, v3
	s_or_b32 s17, vcc_lo, s17
	s_andn2_b32 exec_lo, exec_lo, s17
	s_cbranch_execz .LBB4_162
.LBB4_205:                              ;   Parent Loop BB4_164 Depth=1
                                        ; =>  This Loop Header: Depth=2
                                        ;       Child Loop BB4_208 Depth 3
	s_and_saveexec_b32 s28, s2
	s_cbranch_execz .LBB4_204
; %bb.206:                              ;   in Loop: Header=BB4_205 Depth=2
	v_mov_b32_e32 v15, v13
	v_mov_b32_e32 v16, v1
	s_mov_b32 s29, 0
	s_branch .LBB4_208
	.p2align	6
.LBB4_207:                              ;   in Loop: Header=BB4_208 Depth=3
	v_ashrrev_i32_e32 v5, 31, v4
	v_add_nc_u32_e32 v16, 2, v16
	v_add_nc_u32_e32 v15, 0x108, v15
	v_lshlrev_b64 v[4:5], 2, v[4:5]
	v_cmp_le_i32_e32 vcc_lo, s23, v16
	s_or_b32 s29, vcc_lo, s29
	v_add_co_u32 v4, s3, s12, v4
	v_add_co_ci_u32_e64 v5, null, s13, v5, s3
	s_waitcnt lgkmcnt(0)
	global_store_dword v[4:5], v17, off
	s_andn2_b32 exec_lo, exec_lo, s29
	s_cbranch_execz .LBB4_204
.LBB4_208:                              ;   Parent Loop BB4_164 Depth=1
                                        ;     Parent Loop BB4_205 Depth=2
                                        ; =>    This Inner Loop Header: Depth=3
	ds_read_b32 v17, v15
	s_and_b32 vcc_lo, exec_lo, s5
	s_cbranch_vccz .LBB4_210
; %bb.209:                              ;   in Loop: Header=BB4_208 Depth=3
	v_add_nc_u32_e32 v4, s16, v16
	v_mad_u64_u32 v[4:5], null, v4, s23, v[3:4]
	s_cbranch_execnz .LBB4_207
	s_branch .LBB4_211
	.p2align	6
.LBB4_210:                              ;   in Loop: Header=BB4_208 Depth=3
                                        ; implicit-def: $vgpr4
.LBB4_211:                              ;   in Loop: Header=BB4_208 Depth=3
	v_add_nc_u32_e32 v4, v14, v16
	s_branch .LBB4_207
.LBB4_212:
	v_or_b32_e32 v0, v0, v1
	s_mov_b32 s0, exec_lo
	v_cmpx_eq_u32_e32 0, v0
	s_cbranch_execz .LBB4_216
; %bb.213:
	v_mov_b32_e32 v0, 0
	v_mov_b32_e32 v1, 1
	s_add_u32 s0, s20, s26
	s_addc_u32 s1, s21, s27
	s_andn2_b32 vcc_lo, exec_lo, s33
	s_waitcnt vmcnt(0) lgkmcnt(0)
	s_waitcnt_vscnt null, 0x0
	global_store_dword v0, v1, s[0:1]
	s_cbranch_vccnz .LBB4_216
; %bb.214:
	v_mbcnt_lo_u32_b32 v0, exec_lo, 0
	v_cmp_eq_u32_e32 vcc_lo, 0, v0
	s_and_b32 exec_lo, exec_lo, vcc_lo
	s_cbranch_execz .LBB4_216
; %bb.215:
	s_add_i32 s0, s22, s24
	v_mov_b32_e32 v0, 0
	v_mov_b32_e32 v1, s0
	global_atomic_smin v0, v1, s[18:19]
.LBB4_216:
	s_endpgm
	.section	.rodata,"a",@progbits
	.p2align	6, 0x0
	.amdhsa_kernel _ZN9rocsparseL12bsrilu0_9_32ILj64ELj64ELj32EfEEv20rocsparse_direction_iPKiS3_PT2_S3_iPiS3_S6_21rocsparse_index_base_imNS_24const_host_device_scalarIfEENS8_IdEENS8_IS4_EEb
		.amdhsa_group_segment_fixed_size 8448
		.amdhsa_private_segment_fixed_size 0
		.amdhsa_kernarg_size 116
		.amdhsa_user_sgpr_count 6
		.amdhsa_user_sgpr_private_segment_buffer 1
		.amdhsa_user_sgpr_dispatch_ptr 0
		.amdhsa_user_sgpr_queue_ptr 0
		.amdhsa_user_sgpr_kernarg_segment_ptr 1
		.amdhsa_user_sgpr_dispatch_id 0
		.amdhsa_user_sgpr_flat_scratch_init 0
		.amdhsa_user_sgpr_private_segment_size 0
		.amdhsa_wavefront_size32 1
		.amdhsa_uses_dynamic_stack 0
		.amdhsa_system_sgpr_private_segment_wavefront_offset 0
		.amdhsa_system_sgpr_workgroup_id_x 1
		.amdhsa_system_sgpr_workgroup_id_y 0
		.amdhsa_system_sgpr_workgroup_id_z 0
		.amdhsa_system_sgpr_workgroup_info 0
		.amdhsa_system_vgpr_workitem_id 1
		.amdhsa_next_free_vgpr 113
		.amdhsa_next_free_sgpr 50
		.amdhsa_reserve_vcc 1
		.amdhsa_reserve_flat_scratch 0
		.amdhsa_float_round_mode_32 0
		.amdhsa_float_round_mode_16_64 0
		.amdhsa_float_denorm_mode_32 3
		.amdhsa_float_denorm_mode_16_64 3
		.amdhsa_dx10_clamp 1
		.amdhsa_ieee_mode 1
		.amdhsa_fp16_overflow 0
		.amdhsa_workgroup_processor_mode 1
		.amdhsa_memory_ordered 1
		.amdhsa_forward_progress 1
		.amdhsa_shared_vgpr_count 0
		.amdhsa_exception_fp_ieee_invalid_op 0
		.amdhsa_exception_fp_denorm_src 0
		.amdhsa_exception_fp_ieee_div_zero 0
		.amdhsa_exception_fp_ieee_overflow 0
		.amdhsa_exception_fp_ieee_underflow 0
		.amdhsa_exception_fp_ieee_inexact 0
		.amdhsa_exception_int_div_zero 0
	.end_amdhsa_kernel
	.section	.text._ZN9rocsparseL12bsrilu0_9_32ILj64ELj64ELj32EfEEv20rocsparse_direction_iPKiS3_PT2_S3_iPiS3_S6_21rocsparse_index_base_imNS_24const_host_device_scalarIfEENS8_IdEENS8_IS4_EEb,"axG",@progbits,_ZN9rocsparseL12bsrilu0_9_32ILj64ELj64ELj32EfEEv20rocsparse_direction_iPKiS3_PT2_S3_iPiS3_S6_21rocsparse_index_base_imNS_24const_host_device_scalarIfEENS8_IdEENS8_IS4_EEb,comdat
.Lfunc_end4:
	.size	_ZN9rocsparseL12bsrilu0_9_32ILj64ELj64ELj32EfEEv20rocsparse_direction_iPKiS3_PT2_S3_iPiS3_S6_21rocsparse_index_base_imNS_24const_host_device_scalarIfEENS8_IdEENS8_IS4_EEb, .Lfunc_end4-_ZN9rocsparseL12bsrilu0_9_32ILj64ELj64ELj32EfEEv20rocsparse_direction_iPKiS3_PT2_S3_iPiS3_S6_21rocsparse_index_base_imNS_24const_host_device_scalarIfEENS8_IdEENS8_IS4_EEb
                                        ; -- End function
	.set _ZN9rocsparseL12bsrilu0_9_32ILj64ELj64ELj32EfEEv20rocsparse_direction_iPKiS3_PT2_S3_iPiS3_S6_21rocsparse_index_base_imNS_24const_host_device_scalarIfEENS8_IdEENS8_IS4_EEb.num_vgpr, 36
	.set _ZN9rocsparseL12bsrilu0_9_32ILj64ELj64ELj32EfEEv20rocsparse_direction_iPKiS3_PT2_S3_iPiS3_S6_21rocsparse_index_base_imNS_24const_host_device_scalarIfEENS8_IdEENS8_IS4_EEb.num_agpr, 0
	.set _ZN9rocsparseL12bsrilu0_9_32ILj64ELj64ELj32EfEEv20rocsparse_direction_iPKiS3_PT2_S3_iPiS3_S6_21rocsparse_index_base_imNS_24const_host_device_scalarIfEENS8_IdEENS8_IS4_EEb.numbered_sgpr, 50
	.set _ZN9rocsparseL12bsrilu0_9_32ILj64ELj64ELj32EfEEv20rocsparse_direction_iPKiS3_PT2_S3_iPiS3_S6_21rocsparse_index_base_imNS_24const_host_device_scalarIfEENS8_IdEENS8_IS4_EEb.num_named_barrier, 0
	.set _ZN9rocsparseL12bsrilu0_9_32ILj64ELj64ELj32EfEEv20rocsparse_direction_iPKiS3_PT2_S3_iPiS3_S6_21rocsparse_index_base_imNS_24const_host_device_scalarIfEENS8_IdEENS8_IS4_EEb.private_seg_size, 0
	.set _ZN9rocsparseL12bsrilu0_9_32ILj64ELj64ELj32EfEEv20rocsparse_direction_iPKiS3_PT2_S3_iPiS3_S6_21rocsparse_index_base_imNS_24const_host_device_scalarIfEENS8_IdEENS8_IS4_EEb.uses_vcc, 1
	.set _ZN9rocsparseL12bsrilu0_9_32ILj64ELj64ELj32EfEEv20rocsparse_direction_iPKiS3_PT2_S3_iPiS3_S6_21rocsparse_index_base_imNS_24const_host_device_scalarIfEENS8_IdEENS8_IS4_EEb.uses_flat_scratch, 0
	.set _ZN9rocsparseL12bsrilu0_9_32ILj64ELj64ELj32EfEEv20rocsparse_direction_iPKiS3_PT2_S3_iPiS3_S6_21rocsparse_index_base_imNS_24const_host_device_scalarIfEENS8_IdEENS8_IS4_EEb.has_dyn_sized_stack, 0
	.set _ZN9rocsparseL12bsrilu0_9_32ILj64ELj64ELj32EfEEv20rocsparse_direction_iPKiS3_PT2_S3_iPiS3_S6_21rocsparse_index_base_imNS_24const_host_device_scalarIfEENS8_IdEENS8_IS4_EEb.has_recursion, 0
	.set _ZN9rocsparseL12bsrilu0_9_32ILj64ELj64ELj32EfEEv20rocsparse_direction_iPKiS3_PT2_S3_iPiS3_S6_21rocsparse_index_base_imNS_24const_host_device_scalarIfEENS8_IdEENS8_IS4_EEb.has_indirect_call, 0
	.section	.AMDGPU.csdata,"",@progbits
; Kernel info:
; codeLenInByte = 7020
; TotalNumSgprs: 52
; NumVgprs: 36
; ScratchSize: 0
; MemoryBound: 0
; FloatMode: 240
; IeeeMode: 1
; LDSByteSize: 8448 bytes/workgroup (compile time only)
; SGPRBlocks: 0
; VGPRBlocks: 14
; NumSGPRsForWavesPerEU: 52
; NumVGPRsForWavesPerEU: 113
; Occupancy: 8
; WaveLimiterHint : 1
; COMPUTE_PGM_RSRC2:SCRATCH_EN: 0
; COMPUTE_PGM_RSRC2:USER_SGPR: 6
; COMPUTE_PGM_RSRC2:TRAP_HANDLER: 0
; COMPUTE_PGM_RSRC2:TGID_X_EN: 1
; COMPUTE_PGM_RSRC2:TGID_Y_EN: 0
; COMPUTE_PGM_RSRC2:TGID_Z_EN: 0
; COMPUTE_PGM_RSRC2:TIDIG_COMP_CNT: 1
	.section	.text._ZN9rocsparseL13bsrilu0_33_64ILj64ELj64ELj64EfEEv20rocsparse_direction_iPKiS3_PT2_S3_iPiS3_S6_21rocsparse_index_base_imNS_24const_host_device_scalarIfEENS8_IdEENS8_IS4_EEb,"axG",@progbits,_ZN9rocsparseL13bsrilu0_33_64ILj64ELj64ELj64EfEEv20rocsparse_direction_iPKiS3_PT2_S3_iPiS3_S6_21rocsparse_index_base_imNS_24const_host_device_scalarIfEENS8_IdEENS8_IS4_EEb,comdat
	.globl	_ZN9rocsparseL13bsrilu0_33_64ILj64ELj64ELj64EfEEv20rocsparse_direction_iPKiS3_PT2_S3_iPiS3_S6_21rocsparse_index_base_imNS_24const_host_device_scalarIfEENS8_IdEENS8_IS4_EEb ; -- Begin function _ZN9rocsparseL13bsrilu0_33_64ILj64ELj64ELj64EfEEv20rocsparse_direction_iPKiS3_PT2_S3_iPiS3_S6_21rocsparse_index_base_imNS_24const_host_device_scalarIfEENS8_IdEENS8_IS4_EEb
	.p2align	8
	.type	_ZN9rocsparseL13bsrilu0_33_64ILj64ELj64ELj64EfEEv20rocsparse_direction_iPKiS3_PT2_S3_iPiS3_S6_21rocsparse_index_base_imNS_24const_host_device_scalarIfEENS8_IdEENS8_IS4_EEb,@function
_ZN9rocsparseL13bsrilu0_33_64ILj64ELj64ELj64EfEEv20rocsparse_direction_iPKiS3_PT2_S3_iPiS3_S6_21rocsparse_index_base_imNS_24const_host_device_scalarIfEENS8_IdEENS8_IS4_EEb: ; @_ZN9rocsparseL13bsrilu0_33_64ILj64ELj64ELj64EfEEv20rocsparse_direction_iPKiS3_PT2_S3_iPiS3_S6_21rocsparse_index_base_imNS_24const_host_device_scalarIfEENS8_IdEENS8_IS4_EEb
; %bb.0:
	s_clause 0x2
	s_load_dword s0, s[4:5], 0x70
	s_load_dwordx2 s[24:25], s[4:5], 0x48
	s_load_dwordx8 s[16:23], s[4:5], 0x50
	s_waitcnt lgkmcnt(0)
	s_bitcmp1_b32 s0, 0
	s_cselect_b32 s0, -1, 0
	s_cmp_eq_u32 s25, 0
	s_cselect_b32 s2, -1, 0
	s_cmp_lg_u32 s25, 0
	s_cselect_b32 s25, -1, 0
	s_or_b32 s7, s2, s0
	s_xor_b32 s3, s7, -1
	s_and_b32 s0, s2, exec_lo
	s_cselect_b32 s1, 0, s21
	s_cselect_b32 s0, 0, s20
	s_and_b32 vcc_lo, exec_lo, s7
	s_cbranch_vccnz .LBB5_2
; %bb.1:
	s_load_dword s0, s[18:19], 0x0
	s_waitcnt lgkmcnt(0)
	v_mov_b32_e32 v11, s0
	s_mov_b64 s[0:1], s[20:21]
	s_branch .LBB5_3
.LBB5_2:
	v_cndmask_b32_e64 v11, s18, 0, s2
.LBB5_3:
	v_mov_b32_e32 v3, s1
	v_cndmask_b32_e64 v4, 0, 1, s3
	v_mov_b32_e32 v2, s0
	s_andn2_b32 vcc_lo, exec_lo, s3
	s_cbranch_vccnz .LBB5_5
; %bb.4:
	v_mov_b32_e32 v2, s20
	v_mov_b32_e32 v3, s21
	flat_load_dwordx2 v[2:3], v[2:3]
.LBB5_5:
	v_cmp_ne_u32_e32 vcc_lo, 1, v4
	s_mov_b32 s7, 0
	s_cbranch_vccnz .LBB5_7
; %bb.6:
	s_load_dword s0, s[22:23], 0x0
	s_waitcnt lgkmcnt(0)
	v_mov_b32_e32 v10, s0
	s_branch .LBB5_8
.LBB5_7:
	v_cndmask_b32_e64 v10, s22, 0, s2
.LBB5_8:
	s_clause 0x1
	s_load_dwordx4 s[20:23], s[4:5], 0x30
	s_load_dwordx2 s[18:19], s[4:5], 0x40
	s_lshl_b64 s[0:1], s[6:7], 2
	s_waitcnt lgkmcnt(0)
	s_add_u32 s0, s22, s0
	s_addc_u32 s1, s23, s1
	s_load_dword s22, s[0:1], 0x0
	s_load_dwordx8 s[8:15], s[4:5], 0x8
	s_waitcnt lgkmcnt(0)
	s_ashr_i32 s23, s22, 31
	s_lshl_b64 s[26:27], s[22:23], 2
	s_add_u32 s0, s14, s26
	s_addc_u32 s1, s15, s27
	s_load_dword s30, s[0:1], 0x0
	s_waitcnt lgkmcnt(0)
	s_cmp_eq_u32 s30, -1
	s_cbranch_scc1 .LBB5_102
; %bb.9:
	s_add_u32 s0, s8, s26
	s_addc_u32 s1, s9, s27
	s_mov_b32 s29, 0
	s_load_dwordx2 s[0:1], s[0:1], 0x0
	s_clause 0x1
	s_load_dwordx2 s[34:35], s[4:5], 0x0
	s_load_dword s28, s[4:5], 0x28
	s_waitcnt lgkmcnt(0)
	s_sub_i32 s36, s0, s24
	s_sub_i32 s23, s1, s24
	s_cmp_ge_i32 s36, s30
	s_cbranch_scc1 .LBB5_91
; %bb.10:
	v_lshl_or_b32 v4, v1, 6, v0
	v_mad_u64_u32 v[6:7], null, s28, s36, v[0:1]
	v_add_nc_u32_e32 v12, 1, v1
	v_lshlrev_b32_e32 v9, 2, v0
	v_add_nc_u32_e32 v4, s36, v4
	s_cmp_lg_u32 s34, 0
	v_cmp_gt_i32_e64 s0, s28, v0
	v_cmp_le_i32_e64 s1, s28, v0
	v_mul_lo_u32 v13, s28, v6
	v_ashrrev_i32_e32 v5, 31, v4
	v_cmp_gt_i32_e64 s2, s28, v1
	v_cmp_eq_u32_e64 s3, 0, v1
	v_cmp_gt_i32_e64 s4, s23, v4
	v_mul_u32_u24_e32 v14, 0x104, v1
	v_lshlrev_b64 v[7:8], 2, v[4:5]
	v_mad_u32_u24 v15, 0x104, v1, v9
	v_add_nc_u32_e32 v16, v12, v13
	v_mad_u32_u24 v17, 0x104, v1, 0x104
	v_mov_b32_e32 v18, 0
	s_cselect_b32 s33, -1, 0
	v_add_co_u32 v5, vcc_lo, s10, v7
	v_add_co_ci_u32_e64 v6, null, s11, v8, vcc_lo
	s_cmp_gt_i32 s28, 0
	s_mov_b32 s31, 0
	s_cselect_b32 s39, -1, 0
	s_add_i32 s35, s35, 1
	s_lshl_b32 s40, s28, 6
	s_mul_i32 s41, s28, s28
.LBB5_11:                               ; =>This Loop Header: Depth=1
                                        ;     Child Loop BB5_13 Depth 2
                                        ;     Child Loop BB5_17 Depth 2
                                        ;       Child Loop BB5_20 Depth 3
                                        ;     Child Loop BB5_27 Depth 2
                                        ;       Child Loop BB5_30 Depth 3
                                        ;         Child Loop BB5_41 Depth 4
                                        ;     Child Loop BB5_52 Depth 2
                                        ;       Child Loop BB5_57 Depth 3
                                        ;       Child Loop BB5_66 Depth 3
                                        ;         Child Loop BB5_69 Depth 4
                                        ;       Child Loop BB5_75 Depth 3
                                        ;         Child Loop BB5_78 Depth 4
                                        ;           Child Loop BB5_80 Depth 5
	s_ashr_i32 s37, s36, 31
	s_mov_b32 s29, -1
	s_lshl_b64 s[6:7], s[36:37], 2
	s_add_u32 s6, s10, s6
	s_addc_u32 s7, s11, s7
	global_load_dword v7, v18, s[6:7]
	s_waitcnt vmcnt(0)
	v_readfirstlane_b32 s5, v7
	s_sub_i32 s6, s5, s24
	s_ashr_i32 s7, s6, 31
	s_lshl_b64 s[6:7], s[6:7], 2
	s_add_u32 s42, s14, s6
	s_addc_u32 s43, s15, s7
	global_load_dword v7, v18, s[42:43]
	s_waitcnt vmcnt(0)
	v_cmp_eq_u32_e32 vcc_lo, -1, v7
	v_readfirstlane_b32 s42, v7
	v_cmp_ne_u32_e64 s5, -1, v7
	s_cbranch_vccnz .LBB5_89
; %bb.12:                               ;   in Loop: Header=BB5_11 Depth=1
	s_add_u32 s44, s8, s6
	s_addc_u32 s45, s9, s7
	s_add_u32 s6, s20, s6
	global_load_dword v7, v18, s[44:45] offset:4
	s_addc_u32 s7, s21, s7
	s_waitcnt vmcnt(0)
	v_readfirstlane_b32 s37, v7
.LBB5_13:                               ;   Parent Loop BB5_11 Depth=1
                                        ; =>  This Inner Loop Header: Depth=2
	global_load_dword v7, v18, s[6:7] glc dlc
	s_waitcnt vmcnt(0)
	v_cmp_eq_u32_e32 vcc_lo, 0, v7
	s_cbranch_vccnz .LBB5_13
; %bb.14:                               ;   in Loop: Header=BB5_11 Depth=1
	buffer_gl1_inv
	buffer_gl0_inv
	s_and_saveexec_b32 s6, s0
	s_cbranch_execz .LBB5_24
; %bb.15:                               ;   in Loop: Header=BB5_11 Depth=1
	s_mul_i32 s7, s42, s28
	s_waitcnt lgkmcnt(0)
	v_mov_b32_e32 v20, v15
	v_add_nc_u32_e32 v7, s7, v0
	s_mov_b32 s29, 0
	v_mul_lo_u32 v19, s28, v7
	v_mov_b32_e32 v7, v0
	s_inst_prefetch 0x1
	s_branch .LBB5_17
	.p2align	6
.LBB5_16:                               ;   in Loop: Header=BB5_17 Depth=2
	s_or_b32 exec_lo, exec_lo, s38
	v_add_nc_u32_e32 v7, 64, v7
	v_add_nc_u32_e32 v19, s40, v19
	;; [unrolled: 1-line block ×3, first 2 shown]
	v_cmp_le_i32_e32 vcc_lo, s28, v7
	s_or_b32 s29, vcc_lo, s29
	s_andn2_b32 exec_lo, exec_lo, s29
	s_cbranch_execz .LBB5_24
.LBB5_17:                               ;   Parent Loop BB5_11 Depth=1
                                        ; =>  This Loop Header: Depth=2
                                        ;       Child Loop BB5_20 Depth 3
	s_and_saveexec_b32 s38, s2
	s_cbranch_execz .LBB5_16
; %bb.18:                               ;   in Loop: Header=BB5_17 Depth=2
	v_mov_b32_e32 v21, v20
	v_mov_b32_e32 v22, v1
	s_mov_b32 s43, 0
	s_branch .LBB5_20
	.p2align	6
.LBB5_19:                               ;   in Loop: Header=BB5_20 Depth=3
	v_ashrrev_i32_e32 v9, 31, v8
	v_add_nc_u32_e32 v22, 1, v22
	v_lshlrev_b64 v[8:9], 2, v[8:9]
	v_add_co_u32 v8, vcc_lo, s12, v8
	v_add_co_ci_u32_e64 v9, null, s13, v9, vcc_lo
	v_cmp_le_i32_e32 vcc_lo, s28, v22
	global_load_dword v8, v[8:9], off
	s_or_b32 s43, vcc_lo, s43
	s_waitcnt vmcnt(0)
	ds_write_b32 v21, v8
	v_add_nc_u32_e32 v21, 0x104, v21
	s_andn2_b32 exec_lo, exec_lo, s43
	s_cbranch_execz .LBB5_16
.LBB5_20:                               ;   Parent Loop BB5_11 Depth=1
                                        ;     Parent Loop BB5_17 Depth=2
                                        ; =>    This Inner Loop Header: Depth=3
	s_and_b32 vcc_lo, exec_lo, s33
	s_cbranch_vccz .LBB5_22
; %bb.21:                               ;   in Loop: Header=BB5_20 Depth=3
	v_add_nc_u32_e32 v8, s7, v22
	v_mad_u64_u32 v[8:9], null, v8, s28, v[7:8]
	s_cbranch_execnz .LBB5_19
	s_branch .LBB5_23
	.p2align	6
.LBB5_22:                               ;   in Loop: Header=BB5_20 Depth=3
                                        ; implicit-def: $vgpr8
.LBB5_23:                               ;   in Loop: Header=BB5_20 Depth=3
	v_add_nc_u32_e32 v8, v19, v22
	s_branch .LBB5_19
.LBB5_24:                               ;   in Loop: Header=BB5_11 Depth=1
	s_inst_prefetch 0x2
	s_or_b32 exec_lo, exec_lo, s6
	s_andn2_b32 vcc_lo, exec_lo, s39
	s_mul_i32 s29, s36, s28
	s_waitcnt lgkmcnt(0)
	buffer_gl0_inv
	s_cbranch_vccnz .LBB5_47
; %bb.25:                               ;   in Loop: Header=BB5_11 Depth=1
	v_mov_b32_e32 v19, v17
	v_mov_b32_e32 v20, v16
	s_mov_b32 s38, 0
	s_branch .LBB5_27
.LBB5_26:                               ;   in Loop: Header=BB5_27 Depth=2
	s_or_b32 exec_lo, exec_lo, s43
	v_add_nc_u32_e32 v20, 1, v20
	v_add_nc_u32_e32 v19, 0x108, v19
	s_add_i32 s38, s38, 1
	s_cmp_eq_u32 s38, s28
	s_cbranch_scc1 .LBB5_47
.LBB5_27:                               ;   Parent Loop BB5_11 Depth=1
                                        ; =>  This Loop Header: Depth=2
                                        ;       Child Loop BB5_30 Depth 3
                                        ;         Child Loop BB5_41 Depth 4
	s_and_saveexec_b32 s43, s0
	s_cbranch_execz .LBB5_26
; %bb.28:                               ;   in Loop: Header=BB5_27 Depth=2
	s_mul_i32 s6, s38, 0x104
	s_lshl_b32 s7, s38, 2
	v_add_nc_u32_e32 v22, s38, v12
	s_add_i32 s6, s6, s7
	v_mov_b32_e32 v23, v20
	v_mov_b32_e32 v7, s6
	s_add_i32 s44, s38, s29
	v_cmp_gt_i32_e64 s6, s28, v22
	s_mul_i32 s44, s44, s28
	s_mov_b32 s45, 0
	ds_read_b32 v21, v7
	v_mov_b32_e32 v7, v0
	s_branch .LBB5_30
.LBB5_29:                               ;   in Loop: Header=BB5_30 Depth=3
	s_inst_prefetch 0x2
	s_or_b32 exec_lo, exec_lo, s46
	v_add_nc_u32_e32 v7, 64, v7
	v_add_nc_u32_e32 v23, s40, v23
	v_cmp_le_i32_e32 vcc_lo, s28, v7
	s_or_b32 s45, vcc_lo, s45
	s_andn2_b32 exec_lo, exec_lo, s45
	s_cbranch_execz .LBB5_26
.LBB5_30:                               ;   Parent Loop BB5_11 Depth=1
                                        ;     Parent Loop BB5_27 Depth=2
                                        ; =>    This Loop Header: Depth=3
                                        ;         Child Loop BB5_41 Depth 4
	s_and_b32 vcc_lo, exec_lo, s33
	s_cbranch_vccz .LBB5_45
; %bb.31:                               ;   in Loop: Header=BB5_30 Depth=3
	v_add_nc_u32_e32 v8, s44, v7
	s_cbranch_execnz .LBB5_33
.LBB5_32:                               ;   in Loop: Header=BB5_30 Depth=3
	v_add_nc_u32_e32 v8, s29, v7
	v_mad_u64_u32 v[8:9], null, v8, s28, s[38:39]
.LBB5_33:                               ;   in Loop: Header=BB5_30 Depth=3
	v_ashrrev_i32_e32 v9, 31, v8
	v_lshlrev_b64 v[8:9], 2, v[8:9]
	v_add_co_u32 v8, vcc_lo, s12, v8
	v_add_co_ci_u32_e64 v9, null, s13, v9, vcc_lo
	global_load_dword v8, v[8:9], off
	s_waitcnt vmcnt(0) lgkmcnt(0)
	v_div_scale_f32 v9, null, v21, v21, v8
	v_rcp_f32_e32 v24, v9
	v_fma_f32 v25, -v9, v24, 1.0
	v_fmac_f32_e32 v24, v25, v24
	v_div_scale_f32 v25, vcc_lo, v8, v21, v8
	v_mul_f32_e32 v26, v25, v24
	v_fma_f32 v27, -v9, v26, v25
	v_fmac_f32_e32 v26, v27, v24
	v_fma_f32 v9, -v9, v26, v25
	v_div_fmas_f32 v9, v9, v24, v26
	v_div_fixup_f32 v24, v9, v21, v8
	s_and_saveexec_b32 s7, s3
	s_cbranch_execz .LBB5_38
; %bb.34:                               ;   in Loop: Header=BB5_30 Depth=3
	s_and_b32 vcc_lo, exec_lo, s33
	s_cbranch_vccz .LBB5_46
; %bb.35:                               ;   in Loop: Header=BB5_30 Depth=3
	v_add_nc_u32_e32 v8, s44, v7
	s_cbranch_execnz .LBB5_37
.LBB5_36:                               ;   in Loop: Header=BB5_30 Depth=3
	v_add_nc_u32_e32 v8, s29, v7
	v_mad_u64_u32 v[8:9], null, v8, s28, s[38:39]
.LBB5_37:                               ;   in Loop: Header=BB5_30 Depth=3
	v_ashrrev_i32_e32 v9, 31, v8
	v_lshlrev_b64 v[8:9], 2, v[8:9]
	v_add_co_u32 v8, vcc_lo, s12, v8
	v_add_co_ci_u32_e64 v9, null, s13, v9, vcc_lo
	global_store_dword v[8:9], v24, off
.LBB5_38:                               ;   in Loop: Header=BB5_30 Depth=3
	s_or_b32 exec_lo, exec_lo, s7
	s_and_saveexec_b32 s46, s6
	s_cbranch_execz .LBB5_29
; %bb.39:                               ;   in Loop: Header=BB5_30 Depth=3
	v_mov_b32_e32 v25, v19
	v_mov_b32_e32 v26, v23
	;; [unrolled: 1-line block ×3, first 2 shown]
	s_mov_b32 s47, 0
	s_inst_prefetch 0x1
	s_branch .LBB5_41
	.p2align	6
.LBB5_40:                               ;   in Loop: Header=BB5_41 Depth=4
	v_ashrrev_i32_e32 v9, 31, v8
	v_add_nc_u32_e32 v27, 1, v27
	s_waitcnt vmcnt(0) lgkmcnt(0)
	v_fma_f32 v28, -v24, v28, v30
	v_add_nc_u32_e32 v26, 1, v26
	v_add_nc_u32_e32 v25, 0x104, v25
	v_lshlrev_b64 v[8:9], 2, v[8:9]
	v_cmp_le_i32_e32 vcc_lo, s28, v27
	s_or_b32 s47, vcc_lo, s47
	v_add_co_u32 v8, s7, s12, v8
	v_add_co_ci_u32_e64 v9, null, s13, v9, s7
	global_store_dword v[8:9], v28, off
	s_andn2_b32 exec_lo, exec_lo, s47
	s_cbranch_execz .LBB5_29
.LBB5_41:                               ;   Parent Loop BB5_11 Depth=1
                                        ;     Parent Loop BB5_27 Depth=2
                                        ;       Parent Loop BB5_30 Depth=3
                                        ; =>      This Inner Loop Header: Depth=4
	ds_read_b32 v28, v25
	v_add_nc_u32_e32 v29, s29, v27
	v_mov_b32_e32 v8, v26
	s_andn2_b32 vcc_lo, exec_lo, s33
	s_cbranch_vccnz .LBB5_43
; %bb.42:                               ;   in Loop: Header=BB5_41 Depth=4
	v_mad_u64_u32 v[8:9], null, v29, s28, v[7:8]
.LBB5_43:                               ;   in Loop: Header=BB5_41 Depth=4
	v_ashrrev_i32_e32 v9, 31, v8
	v_lshlrev_b64 v[8:9], 2, v[8:9]
	v_add_co_u32 v8, vcc_lo, s12, v8
	v_add_co_ci_u32_e64 v9, null, s13, v9, vcc_lo
	s_andn2_b32 vcc_lo, exec_lo, s33
	global_load_dword v30, v[8:9], off
	v_mov_b32_e32 v8, v26
	s_cbranch_vccnz .LBB5_40
; %bb.44:                               ;   in Loop: Header=BB5_41 Depth=4
	v_mad_u64_u32 v[8:9], null, v29, s28, v[7:8]
	s_branch .LBB5_40
.LBB5_45:                               ;   in Loop: Header=BB5_30 Depth=3
                                        ; implicit-def: $vgpr8
	s_branch .LBB5_32
.LBB5_46:                               ;   in Loop: Header=BB5_30 Depth=3
                                        ; implicit-def: $vgpr8
	s_branch .LBB5_36
.LBB5_47:                               ;   in Loop: Header=BB5_11 Depth=1
	s_sub_i32 s37, s37, s24
	s_add_i32 s6, s42, 1
	s_waitcnt_vscnt null, 0x0
	buffer_gl0_inv
	s_cmp_ge_i32 s6, s37
	s_cbranch_scc1 .LBB5_88
; %bb.48:                               ;   in Loop: Header=BB5_11 Depth=1
	v_mad_u64_u32 v[7:8], null, s28, s6, v[0:1]
	v_mul_lo_u32 v19, s28, v7
	s_branch .LBB5_52
.LBB5_49:                               ;   in Loop: Header=BB5_52 Depth=2
	s_or_b32 exec_lo, exec_lo, s38
.LBB5_50:                               ;   in Loop: Header=BB5_52 Depth=2
	s_or_b32 exec_lo, exec_lo, s7
.LBB5_51:                               ;   in Loop: Header=BB5_52 Depth=2
	v_add_nc_u32_e32 v19, s41, v19
	s_add_i32 s6, s6, 1
	s_cmp_lt_i32 s6, s37
	s_cbranch_scc0 .LBB5_88
.LBB5_52:                               ;   Parent Loop BB5_11 Depth=1
                                        ; =>  This Loop Header: Depth=2
                                        ;       Child Loop BB5_57 Depth 3
                                        ;       Child Loop BB5_66 Depth 3
                                        ;         Child Loop BB5_69 Depth 4
                                        ;       Child Loop BB5_75 Depth 3
                                        ;         Child Loop BB5_78 Depth 4
                                        ;           Child Loop BB5_80 Depth 5
	s_ashr_i32 s7, s6, 31
	v_mov_b32_e32 v8, s35
	s_lshl_b64 s[42:43], s[6:7], 2
	s_add_u32 s42, s10, s42
	s_addc_u32 s43, s11, s43
	global_load_dword v7, v18, s[42:43]
	s_and_saveexec_b32 s7, s4
	s_cbranch_execz .LBB5_54
; %bb.53:                               ;   in Loop: Header=BB5_52 Depth=2
	global_load_dword v8, v[5:6], off
	s_waitcnt vmcnt(0)
	v_subrev_nc_u32_e32 v8, s24, v8
.LBB5_54:                               ;   in Loop: Header=BB5_52 Depth=2
	s_or_b32 exec_lo, exec_lo, s7
	s_waitcnt vmcnt(0)
	v_subrev_nc_u32_e32 v9, s24, v7
	s_waitcnt lgkmcnt(0)
	v_mov_b32_e32 v20, v4
	s_mov_b32 s7, exec_lo
	v_cmpx_lt_i32_e64 v8, v9
	s_cbranch_execz .LBB5_60
; %bb.55:                               ;   in Loop: Header=BB5_52 Depth=2
	v_mov_b32_e32 v7, v4
	s_mov_b32 s38, 0
	s_branch .LBB5_57
	.p2align	6
.LBB5_56:                               ;   in Loop: Header=BB5_57 Depth=3
	s_or_b32 exec_lo, exec_lo, s42
	v_cmp_ge_i32_e32 vcc_lo, v8, v9
	v_mov_b32_e32 v7, v20
	s_or_b32 s38, vcc_lo, s38
	s_andn2_b32 exec_lo, exec_lo, s38
	s_cbranch_execz .LBB5_59
.LBB5_57:                               ;   Parent Loop BB5_11 Depth=1
                                        ;     Parent Loop BB5_52 Depth=2
                                        ; =>    This Inner Loop Header: Depth=3
	v_add_nc_u32_e32 v20, 64, v7
	v_mov_b32_e32 v8, s35
	s_mov_b32 s42, exec_lo
	v_cmpx_gt_i32_e64 s23, v20
	s_cbranch_execz .LBB5_56
; %bb.58:                               ;   in Loop: Header=BB5_57 Depth=3
	v_ashrrev_i32_e32 v8, 31, v7
	v_lshlrev_b64 v[7:8], 2, v[7:8]
	v_add_co_u32 v7, vcc_lo, s10, v7
	v_add_co_ci_u32_e64 v8, null, s11, v8, vcc_lo
	global_load_dword v7, v[7:8], off offset:256
	s_waitcnt vmcnt(0)
	v_subrev_nc_u32_e32 v8, s24, v7
	s_branch .LBB5_56
.LBB5_59:                               ;   in Loop: Header=BB5_52 Depth=2
	s_or_b32 exec_lo, exec_lo, s38
.LBB5_60:                               ;   in Loop: Header=BB5_52 Depth=2
	s_or_b32 exec_lo, exec_lo, s7
	v_cmp_eq_u32_e32 vcc_lo, v8, v9
	s_cbranch_vccz .LBB5_51
; %bb.61:                               ;   in Loop: Header=BB5_52 Depth=2
	s_ff1_i32_b32 s7, vcc_lo
	s_lshl_b32 s7, s7, 2
	v_mov_b32_e32 v7, s7
	ds_bpermute_b32 v20, v7, v20
	s_and_saveexec_b32 s7, s1
	s_xor_b32 s7, exec_lo, s7
	s_cbranch_execz .LBB5_63
; %bb.62:                               ;   in Loop: Header=BB5_52 Depth=2
	s_waitcnt lgkmcnt(0)
	buffer_gl0_inv
                                        ; implicit-def: $vgpr20
.LBB5_63:                               ;   in Loop: Header=BB5_52 Depth=2
	s_andn2_saveexec_b32 s7, s7
	s_cbranch_execz .LBB5_50
; %bb.64:                               ;   in Loop: Header=BB5_52 Depth=2
	v_mov_b32_e32 v21, v15
	v_mov_b32_e32 v22, v19
	;; [unrolled: 1-line block ×3, first 2 shown]
	s_mul_i32 s42, s6, s28
	s_mov_b32 s38, 0
	s_inst_prefetch 0x1
	s_branch .LBB5_66
	.p2align	6
.LBB5_65:                               ;   in Loop: Header=BB5_66 Depth=3
	s_or_b32 exec_lo, exec_lo, s43
	v_add_nc_u32_e32 v7, 64, v7
	v_add_nc_u32_e32 v22, s40, v22
	v_add_nc_u32_e32 v21, 0x100, v21
	v_cmp_le_i32_e32 vcc_lo, s28, v7
	s_or_b32 s38, vcc_lo, s38
	s_andn2_b32 exec_lo, exec_lo, s38
	s_cbranch_execz .LBB5_73
.LBB5_66:                               ;   Parent Loop BB5_11 Depth=1
                                        ;     Parent Loop BB5_52 Depth=2
                                        ; =>    This Loop Header: Depth=3
                                        ;         Child Loop BB5_69 Depth 4
	s_and_saveexec_b32 s43, s2
	s_cbranch_execz .LBB5_65
; %bb.67:                               ;   in Loop: Header=BB5_66 Depth=3
	v_mov_b32_e32 v23, v21
	v_mov_b32_e32 v24, v1
	s_mov_b32 s44, 0
	s_branch .LBB5_69
	.p2align	6
.LBB5_68:                               ;   in Loop: Header=BB5_69 Depth=4
	v_ashrrev_i32_e32 v9, 31, v8
	v_add_nc_u32_e32 v24, 1, v24
	v_lshlrev_b64 v[8:9], 2, v[8:9]
	v_add_co_u32 v8, vcc_lo, s12, v8
	v_add_co_ci_u32_e64 v9, null, s13, v9, vcc_lo
	v_cmp_le_i32_e32 vcc_lo, s28, v24
	global_load_dword v8, v[8:9], off
	s_or_b32 s44, vcc_lo, s44
	s_waitcnt vmcnt(0)
	ds_write_b32 v23, v8
	v_add_nc_u32_e32 v23, 0x104, v23
	s_andn2_b32 exec_lo, exec_lo, s44
	s_cbranch_execz .LBB5_65
.LBB5_69:                               ;   Parent Loop BB5_11 Depth=1
                                        ;     Parent Loop BB5_52 Depth=2
                                        ;       Parent Loop BB5_66 Depth=3
                                        ; =>      This Inner Loop Header: Depth=4
	s_and_b32 vcc_lo, exec_lo, s33
	s_cbranch_vccz .LBB5_71
; %bb.70:                               ;   in Loop: Header=BB5_69 Depth=4
	v_add_nc_u32_e32 v8, s42, v24
	v_mad_u64_u32 v[8:9], null, v8, s28, v[7:8]
	s_cbranch_execnz .LBB5_68
	s_branch .LBB5_72
	.p2align	6
.LBB5_71:                               ;   in Loop: Header=BB5_69 Depth=4
                                        ; implicit-def: $vgpr8
.LBB5_72:                               ;   in Loop: Header=BB5_69 Depth=4
	v_add_nc_u32_e32 v8, v22, v24
	s_branch .LBB5_68
.LBB5_73:                               ;   in Loop: Header=BB5_52 Depth=2
	s_inst_prefetch 0x2
	s_or_b32 exec_lo, exec_lo, s38
	s_waitcnt lgkmcnt(0)
	v_mul_lo_u32 v20, v20, s28
	v_mov_b32_e32 v21, v13
	v_mov_b32_e32 v7, v0
	s_mov_b32 s38, 0
	buffer_gl0_inv
	s_branch .LBB5_75
.LBB5_74:                               ;   in Loop: Header=BB5_75 Depth=3
	s_or_b32 exec_lo, exec_lo, s42
	v_add_nc_u32_e32 v7, 64, v7
	v_add_nc_u32_e32 v21, s40, v21
	v_cmp_le_i32_e32 vcc_lo, s28, v7
	s_or_b32 s38, vcc_lo, s38
	s_andn2_b32 exec_lo, exec_lo, s38
	s_cbranch_execz .LBB5_49
.LBB5_75:                               ;   Parent Loop BB5_11 Depth=1
                                        ;     Parent Loop BB5_52 Depth=2
                                        ; =>    This Loop Header: Depth=3
                                        ;         Child Loop BB5_78 Depth 4
                                        ;           Child Loop BB5_80 Depth 5
	s_and_saveexec_b32 s42, s2
	s_cbranch_execz .LBB5_74
; %bb.76:                               ;   in Loop: Header=BB5_75 Depth=3
	v_add_nc_u32_e32 v8, v7, v20
	v_mov_b32_e32 v23, v14
	v_mov_b32_e32 v24, v1
	s_mov_b32 s43, 0
	v_mul_lo_u32 v22, v8, s28
	s_branch .LBB5_78
.LBB5_77:                               ;   in Loop: Header=BB5_78 Depth=4
	v_ashrrev_i32_e32 v9, 31, v8
	v_add_nc_u32_e32 v24, 1, v24
	v_add_nc_u32_e32 v23, 0x104, v23
	v_lshlrev_b64 v[8:9], 2, v[8:9]
	v_add_co_u32 v8, vcc_lo, s12, v8
	v_add_co_ci_u32_e64 v9, null, s13, v9, vcc_lo
	v_cmp_le_i32_e32 vcc_lo, s28, v24
	global_load_dword v26, v[8:9], off
	s_or_b32 s43, vcc_lo, s43
	s_waitcnt vmcnt(0)
	v_sub_f32_e32 v25, v26, v25
	global_store_dword v[8:9], v25, off
	s_andn2_b32 exec_lo, exec_lo, s43
	s_cbranch_execz .LBB5_74
.LBB5_78:                               ;   Parent Loop BB5_11 Depth=1
                                        ;     Parent Loop BB5_52 Depth=2
                                        ;       Parent Loop BB5_75 Depth=3
                                        ; =>      This Loop Header: Depth=4
                                        ;           Child Loop BB5_80 Depth 5
	v_mov_b32_e32 v25, 0
	v_mov_b32_e32 v26, v23
	s_mov_b32 s44, 0
	s_inst_prefetch 0x1
	s_branch .LBB5_80
	.p2align	6
.LBB5_79:                               ;   in Loop: Header=BB5_80 Depth=5
	v_ashrrev_i32_e32 v9, 31, v8
	s_add_i32 s44, s44, 1
	s_cmp_eq_u32 s28, s44
	v_lshlrev_b64 v[8:9], 2, v[8:9]
	v_add_co_u32 v8, vcc_lo, s12, v8
	v_add_co_ci_u32_e64 v9, null, s13, v9, vcc_lo
	global_load_dword v8, v[8:9], off
	ds_read_b32 v9, v26
	v_add_nc_u32_e32 v26, 4, v26
	s_waitcnt vmcnt(0) lgkmcnt(0)
	v_fmac_f32_e32 v25, v8, v9
	s_cbranch_scc1 .LBB5_84
.LBB5_80:                               ;   Parent Loop BB5_11 Depth=1
                                        ;     Parent Loop BB5_52 Depth=2
                                        ;       Parent Loop BB5_75 Depth=3
                                        ;         Parent Loop BB5_78 Depth=4
                                        ; =>        This Inner Loop Header: Depth=5
	s_and_b32 vcc_lo, exec_lo, s33
	s_cbranch_vccz .LBB5_82
; %bb.81:                               ;   in Loop: Header=BB5_80 Depth=5
	s_add_i32 s45, s44, s29
	v_mad_u64_u32 v[8:9], null, s45, s28, v[7:8]
	s_cbranch_execnz .LBB5_79
	s_branch .LBB5_83
	.p2align	6
.LBB5_82:                               ;   in Loop: Header=BB5_80 Depth=5
                                        ; implicit-def: $vgpr8
.LBB5_83:                               ;   in Loop: Header=BB5_80 Depth=5
	v_add_nc_u32_e32 v8, s44, v21
	s_branch .LBB5_79
.LBB5_84:                               ;   in Loop: Header=BB5_78 Depth=4
	s_inst_prefetch 0x2
	s_and_b32 vcc_lo, exec_lo, s33
	s_cbranch_vccz .LBB5_86
; %bb.85:                               ;   in Loop: Header=BB5_78 Depth=4
	v_add_nc_u32_e32 v8, v24, v20
	v_mad_u64_u32 v[8:9], null, v8, s28, v[7:8]
	s_cbranch_execnz .LBB5_77
	s_branch .LBB5_87
.LBB5_86:                               ;   in Loop: Header=BB5_78 Depth=4
                                        ; implicit-def: $vgpr8
.LBB5_87:                               ;   in Loop: Header=BB5_78 Depth=4
	v_add_nc_u32_e32 v8, v24, v22
	s_branch .LBB5_77
.LBB5_88:                               ;   in Loop: Header=BB5_11 Depth=1
	s_mov_b32 s29, s31
.LBB5_89:                               ;   in Loop: Header=BB5_11 Depth=1
	s_add_i32 s36, s36, 1
	v_add_nc_u32_e32 v16, s41, v16
	s_cmp_lt_i32 s36, s30
	v_add_nc_u32_e32 v13, s41, v13
	s_cselect_b32 s6, -1, 0
	s_and_b32 s5, s5, s6
	s_and_b32 vcc_lo, exec_lo, s5
	s_cbranch_vccz .LBB5_91
; %bb.90:                               ;   in Loop: Header=BB5_11 Depth=1
	s_mov_b32 s31, s29
	s_branch .LBB5_11
.LBB5_91:
	s_ashr_i32 s31, s30, 31
	v_mov_b32_e32 v4, 0
	s_lshl_b64 s[0:1], s[30:31], 2
	s_waitcnt vmcnt(0) lgkmcnt(0)
	s_waitcnt_vscnt null, 0x0
	buffer_gl0_inv
	s_add_u32 s0, s10, s0
	s_addc_u32 s1, s11, s1
	global_load_dword v4, v4, s[0:1]
	s_waitcnt vmcnt(0)
	v_subrev_nc_u32_e32 v4, s24, v4
	v_cmp_ne_u32_e32 vcc_lo, s22, v4
	s_cbranch_vccnz .LBB5_136
; %bb.92:
	v_cmp_gt_i32_e64 s0, s28, v0
	s_and_saveexec_b32 s2, s0
	s_cbranch_execz .LBB5_103
; %bb.93:
	s_mul_i32 s3, s30, s28
	v_lshlrev_b32_e32 v5, 2, v0
	v_add_nc_u32_e32 v4, s3, v0
	v_cmp_gt_u32_e64 s1, s28, v1
	s_cmp_lg_u32 s34, 0
	s_mov_b32 s4, 0
	v_mad_u32_u24 v8, 0x104, v1, v5
	v_mul_lo_u32 v7, s28, v4
	v_mov_b32_e32 v4, v0
	s_cselect_b32 s5, -1, 0
	s_lshl_b32 s6, s28, 6
	s_inst_prefetch 0x1
	s_branch .LBB5_95
	.p2align	6
.LBB5_94:                               ;   in Loop: Header=BB5_95 Depth=1
	s_or_b32 exec_lo, exec_lo, s7
	v_add_nc_u32_e32 v4, 64, v4
	v_add_nc_u32_e32 v7, s6, v7
	;; [unrolled: 1-line block ×3, first 2 shown]
	v_cmp_le_i32_e32 vcc_lo, s28, v4
	s_or_b32 s4, vcc_lo, s4
	s_andn2_b32 exec_lo, exec_lo, s4
	s_cbranch_execz .LBB5_103
.LBB5_95:                               ; =>This Loop Header: Depth=1
                                        ;     Child Loop BB5_98 Depth 2
	s_and_saveexec_b32 s7, s1
	s_cbranch_execz .LBB5_94
; %bb.96:                               ;   in Loop: Header=BB5_95 Depth=1
	v_mov_b32_e32 v9, v8
	v_mov_b32_e32 v12, v1
	s_mov_b32 s8, 0
	s_branch .LBB5_98
	.p2align	6
.LBB5_97:                               ;   in Loop: Header=BB5_98 Depth=2
	v_ashrrev_i32_e32 v6, 31, v5
	v_add_nc_u32_e32 v12, 1, v12
	v_lshlrev_b64 v[5:6], 2, v[5:6]
	v_add_co_u32 v5, vcc_lo, s12, v5
	v_add_co_ci_u32_e64 v6, null, s13, v6, vcc_lo
	v_cmp_le_i32_e32 vcc_lo, s28, v12
	global_load_dword v5, v[5:6], off
	s_or_b32 s8, vcc_lo, s8
	s_waitcnt vmcnt(0)
	ds_write_b32 v9, v5
	v_add_nc_u32_e32 v9, 0x104, v9
	s_andn2_b32 exec_lo, exec_lo, s8
	s_cbranch_execz .LBB5_94
.LBB5_98:                               ;   Parent Loop BB5_95 Depth=1
                                        ; =>  This Inner Loop Header: Depth=2
	s_and_b32 vcc_lo, exec_lo, s5
	s_cbranch_vccz .LBB5_100
; %bb.99:                               ;   in Loop: Header=BB5_98 Depth=2
	v_add_nc_u32_e32 v5, s3, v12
	v_mad_u64_u32 v[5:6], null, v5, s28, v[4:5]
	s_cbranch_execnz .LBB5_97
	s_branch .LBB5_101
	.p2align	6
.LBB5_100:                              ;   in Loop: Header=BB5_98 Depth=2
                                        ; implicit-def: $vgpr5
.LBB5_101:                              ;   in Loop: Header=BB5_98 Depth=2
	v_add_nc_u32_e32 v5, v7, v12
	s_branch .LBB5_97
.LBB5_102:
	s_mov_b32 s29, -1
	s_branch .LBB5_171
.LBB5_103:
	s_inst_prefetch 0x2
	s_or_b32 exec_lo, exec_lo, s2
	s_cmp_lt_i32 s28, 1
	s_waitcnt lgkmcnt(0)
	buffer_gl0_inv
	s_cbranch_scc1 .LBB5_125
; %bb.104:
	v_cvt_f64_f32_e32 v[6:7], v11
	v_or_b32_e32 v5, v0, v1
	v_mul_u32_u24_e32 v8, 0x104, v1
	v_lshlrev_b32_e32 v9, 2, v0
	s_cmp_eq_u64 s[16:17], 8
	v_cmp_eq_u32_e64 s1, 0, v1
	s_cselect_b32 vcc_lo, -1, 0
	v_mad_u32_u24 v4, 0x104, v1, 0x104
	v_cmp_eq_u32_e64 s2, 0, v5
	v_add3_u32 v5, v8, v9, 0x108
	s_mov_b32 s4, 0
	v_cndmask_b32_e32 v3, v7, v3, vcc_lo
	v_cndmask_b32_e32 v2, v6, v2, vcc_lo
.LBB5_105:                              ; =>This Loop Header: Depth=1
                                        ;     Child Loop BB5_117 Depth 2
                                        ;       Child Loop BB5_121 Depth 3
	s_mul_i32 s5, s4, 0x104
	s_lshl_b32 s3, s4, 2
	s_mov_b32 s7, -1
	s_add_i32 s6, s5, s3
	s_andn2_b32 vcc_lo, exec_lo, s25
	v_mov_b32_e32 v6, s6
	s_mov_b32 s3, 0
	s_waitcnt lgkmcnt(0)
	ds_read_b32 v7, v6
                                        ; implicit-def: $vgpr6
	s_cbranch_vccz .LBB5_110
; %bb.106:                              ;   in Loop: Header=BB5_105 Depth=1
	s_andn2_b32 vcc_lo, exec_lo, s7
	s_mov_b32 s7, 0
	s_cbranch_vccz .LBB5_113
.LBB5_107:                              ;   in Loop: Header=BB5_105 Depth=1
	s_andn2_b32 vcc_lo, exec_lo, s3
                                        ; implicit-def: $sgpr6
	s_cbranch_vccz .LBB5_114
.LBB5_108:                              ;   in Loop: Header=BB5_105 Depth=1
	s_andn2_b32 vcc_lo, exec_lo, s7
	s_cbranch_vccz .LBB5_123
.LBB5_109:                              ;   in Loop: Header=BB5_105 Depth=1
	v_add_nc_u32_e32 v5, 0x108, v5
	v_add_nc_u32_e32 v4, 0x108, v4
	s_cmp_eq_u32 s6, s28
	s_cbranch_scc0 .LBB5_124
	s_branch .LBB5_125
.LBB5_110:                              ;   in Loop: Header=BB5_105 Depth=1
	s_waitcnt lgkmcnt(0)
	v_cmp_gt_f32_e32 vcc_lo, 0, v7
	buffer_gl0_inv
	v_cndmask_b32_e64 v6, v7, -v7, vcc_lo
	v_cvt_f64_f32_e32 v[8:9], v6
	v_cmp_ge_f64_e32 vcc_lo, v[2:3], v[8:9]
	v_cndmask_b32_e32 v6, v7, v10, vcc_lo
	s_and_saveexec_b32 s3, s2
; %bb.111:                              ;   in Loop: Header=BB5_105 Depth=1
	v_mov_b32_e32 v8, s6
	ds_write_b32 v8, v6
; %bb.112:                              ;   in Loop: Header=BB5_105 Depth=1
	s_or_b32 exec_lo, exec_lo, s3
	s_mov_b32 s3, -1
	s_mov_b32 s7, 0
	s_cbranch_execnz .LBB5_107
.LBB5_113:                              ;   in Loop: Header=BB5_105 Depth=1
	s_waitcnt lgkmcnt(0)
	v_cmp_neq_f32_e64 s3, 0, v7
	v_mov_b32_e32 v6, v7
	s_mov_b32 s7, -1
	s_andn2_b32 vcc_lo, exec_lo, s3
                                        ; implicit-def: $sgpr6
	s_cbranch_vccnz .LBB5_108
.LBB5_114:                              ;   in Loop: Header=BB5_105 Depth=1
	s_add_i32 s6, s4, 1
	s_mov_b32 s7, exec_lo
	s_waitcnt lgkmcnt(0)
	v_add_nc_u32_e32 v7, s6, v0
	v_cmpx_gt_i32_e64 s28, v7
	s_cbranch_execz .LBB5_122
; %bb.115:                              ;   in Loop: Header=BB5_105 Depth=1
	v_add_nc_u32_e32 v8, s6, v1
	v_mov_b32_e32 v9, v5
	s_mov_b32 s8, 0
	v_cmp_gt_i32_e64 s3, s28, v8
	s_branch .LBB5_117
.LBB5_116:                              ;   in Loop: Header=BB5_117 Depth=2
	s_or_b32 exec_lo, exec_lo, s9
	v_add_nc_u32_e32 v7, 64, v7
	v_add_nc_u32_e32 v9, 0x100, v9
	v_cmp_le_i32_e32 vcc_lo, s28, v7
	s_or_b32 s8, vcc_lo, s8
	s_andn2_b32 exec_lo, exec_lo, s8
	s_cbranch_execz .LBB5_122
.LBB5_117:                              ;   Parent Loop BB5_105 Depth=1
                                        ; =>  This Loop Header: Depth=2
                                        ;       Child Loop BB5_121 Depth 3
	v_lshl_add_u32 v12, v7, 2, s5
	ds_read_b32 v11, v12
	s_waitcnt lgkmcnt(0)
	buffer_gl0_inv
	v_div_scale_f32 v13, null, v6, v6, v11
	v_rcp_f32_e32 v14, v13
	v_fma_f32 v15, -v13, v14, 1.0
	v_fmac_f32_e32 v14, v15, v14
	v_div_scale_f32 v15, vcc_lo, v11, v6, v11
	v_mul_f32_e32 v16, v15, v14
	v_fma_f32 v17, -v13, v16, v15
	v_fmac_f32_e32 v16, v17, v14
	v_fma_f32 v13, -v13, v16, v15
	v_div_fmas_f32 v13, v13, v14, v16
	v_div_fixup_f32 v11, v13, v6, v11
	s_and_saveexec_b32 s9, s1
; %bb.118:                              ;   in Loop: Header=BB5_117 Depth=2
	ds_write_b32 v12, v11
; %bb.119:                              ;   in Loop: Header=BB5_117 Depth=2
	s_or_b32 exec_lo, exec_lo, s9
	s_and_saveexec_b32 s9, s3
	s_cbranch_execz .LBB5_116
; %bb.120:                              ;   in Loop: Header=BB5_117 Depth=2
	v_mov_b32_e32 v12, v4
	v_mov_b32_e32 v13, v9
	;; [unrolled: 1-line block ×3, first 2 shown]
	s_mov_b32 s10, 0
	.p2align	6
.LBB5_121:                              ;   Parent Loop BB5_105 Depth=1
                                        ;     Parent Loop BB5_117 Depth=2
                                        ; =>    This Inner Loop Header: Depth=3
	ds_read_b32 v15, v12
	ds_read_b32 v16, v13
	v_add_nc_u32_e32 v14, 1, v14
	v_add_nc_u32_e32 v12, 0x104, v12
	v_cmp_le_i32_e32 vcc_lo, s28, v14
	s_or_b32 s10, vcc_lo, s10
	s_waitcnt lgkmcnt(0)
	v_fma_f32 v15, -v11, v15, v16
	ds_write_b32 v13, v15
	v_add_nc_u32_e32 v13, 0x104, v13
	s_andn2_b32 exec_lo, exec_lo, s10
	s_cbranch_execnz .LBB5_121
	s_branch .LBB5_116
.LBB5_122:                              ;   in Loop: Header=BB5_105 Depth=1
	s_or_b32 exec_lo, exec_lo, s7
	s_cbranch_execnz .LBB5_109
.LBB5_123:                              ;   in Loop: Header=BB5_105 Depth=1
	s_add_i32 s6, s4, 1
	s_mov_b32 s29, -1
	v_add_nc_u32_e32 v5, 0x108, v5
	v_add_nc_u32_e32 v4, 0x108, v4
	s_cmp_eq_u32 s6, s28
	s_cbranch_scc1 .LBB5_125
.LBB5_124:                              ;   in Loop: Header=BB5_105 Depth=1
	s_mov_b32 s4, s6
	s_branch .LBB5_105
.LBB5_125:
	s_waitcnt lgkmcnt(0)
	buffer_gl0_inv
	s_and_saveexec_b32 s2, s0
	s_cbranch_execz .LBB5_135
; %bb.126:
	s_mul_i32 s3, s30, s28
	v_lshlrev_b32_e32 v3, 2, v0
	v_add_nc_u32_e32 v2, s3, v0
	v_cmp_gt_u32_e64 s0, s28, v1
	s_cmp_lg_u32 s34, 0
	s_mov_b32 s4, 0
	v_mad_u32_u24 v6, 0x104, v1, v3
	v_mul_lo_u32 v5, s28, v2
	v_mov_b32_e32 v2, v0
	s_cselect_b32 s5, -1, 0
	s_lshl_b32 s6, s28, 6
	s_inst_prefetch 0x1
	s_branch .LBB5_128
	.p2align	6
.LBB5_127:                              ;   in Loop: Header=BB5_128 Depth=1
	s_or_b32 exec_lo, exec_lo, s7
	v_add_nc_u32_e32 v2, 64, v2
	v_add_nc_u32_e32 v5, s6, v5
	;; [unrolled: 1-line block ×3, first 2 shown]
	v_cmp_le_i32_e32 vcc_lo, s28, v2
	s_or_b32 s4, vcc_lo, s4
	s_andn2_b32 exec_lo, exec_lo, s4
	s_cbranch_execz .LBB5_135
.LBB5_128:                              ; =>This Loop Header: Depth=1
                                        ;     Child Loop BB5_131 Depth 2
	s_and_saveexec_b32 s7, s0
	s_cbranch_execz .LBB5_127
; %bb.129:                              ;   in Loop: Header=BB5_128 Depth=1
	v_mov_b32_e32 v7, v6
	v_mov_b32_e32 v8, v1
	s_mov_b32 s8, 0
	s_branch .LBB5_131
	.p2align	6
.LBB5_130:                              ;   in Loop: Header=BB5_131 Depth=2
	v_ashrrev_i32_e32 v4, 31, v3
	v_add_nc_u32_e32 v8, 1, v8
	v_add_nc_u32_e32 v7, 0x104, v7
	v_lshlrev_b64 v[3:4], 2, v[3:4]
	v_cmp_le_i32_e32 vcc_lo, s28, v8
	s_or_b32 s8, vcc_lo, s8
	v_add_co_u32 v3, s1, s12, v3
	v_add_co_ci_u32_e64 v4, null, s13, v4, s1
	s_waitcnt lgkmcnt(0)
	global_store_dword v[3:4], v9, off
	s_andn2_b32 exec_lo, exec_lo, s8
	s_cbranch_execz .LBB5_127
.LBB5_131:                              ;   Parent Loop BB5_128 Depth=1
                                        ; =>  This Inner Loop Header: Depth=2
	ds_read_b32 v9, v7
	s_and_b32 vcc_lo, exec_lo, s5
	s_cbranch_vccz .LBB5_133
; %bb.132:                              ;   in Loop: Header=BB5_131 Depth=2
	v_add_nc_u32_e32 v3, s3, v8
	v_mad_u64_u32 v[3:4], null, v3, s28, v[2:3]
	s_cbranch_execnz .LBB5_130
	s_branch .LBB5_134
	.p2align	6
.LBB5_133:                              ;   in Loop: Header=BB5_131 Depth=2
                                        ; implicit-def: $vgpr3
.LBB5_134:                              ;   in Loop: Header=BB5_131 Depth=2
	v_add_nc_u32_e32 v3, v5, v8
	s_branch .LBB5_130
.LBB5_135:
	s_inst_prefetch 0x2
	s_or_b32 exec_lo, exec_lo, s2
.LBB5_136:
	s_add_i32 s3, s30, 1
	s_cmp_ge_i32 s3, s23
	s_cbranch_scc1 .LBB5_171
; %bb.137:
	v_mad_u64_u32 v[2:3], null, s28, s3, v[0:1]
	s_mul_i32 s5, s30, s28
	v_lshlrev_b32_e32 v3, 2, v0
	v_add_nc_u32_e32 v4, s5, v1
	v_mul_u32_u24_e32 v5, 0x104, v0
	v_lshlrev_b32_e32 v9, 2, v1
	s_cmp_lg_u32 s34, 0
	v_cmp_gt_i32_e64 s0, s28, v0
	s_cselect_b32 s4, -1, 0
	s_cmp_gt_i32 s28, 0
	v_cmp_gt_i32_e64 s1, s28, v1
	v_add_nc_u32_e32 v6, 1, v1
	v_mul_lo_u32 v7, s28, v2
	v_mad_u32_u24 v8, 0x104, v1, v3
	v_mad_u64_u32 v[2:3], null, s28, v4, s[28:29]
	v_add3_u32 v9, v5, v9, 4
	s_cselect_b32 s6, -1, 0
	s_mul_i32 s7, s28, s28
	s_lshl_b32 s8, s28, 6
	s_add_i32 s9, s28, 1
.LBB5_138:                              ; =>This Loop Header: Depth=1
                                        ;     Child Loop BB5_141 Depth 2
                                        ;       Child Loop BB5_144 Depth 3
                                        ;     Child Loop BB5_151 Depth 2
                                        ;       Child Loop BB5_154 Depth 3
                                        ;         Child Loop BB5_157 Depth 4
                                        ;     Child Loop BB5_162 Depth 2
                                        ;       Child Loop BB5_165 Depth 3
	s_mul_i32 s10, s3, s28
	s_waitcnt_vscnt null, 0x0
	buffer_gl0_inv
	s_and_saveexec_b32 s2, s0
	s_cbranch_execz .LBB5_148
; %bb.139:                              ;   in Loop: Header=BB5_138 Depth=1
	v_mov_b32_e32 v10, v8
	v_mov_b32_e32 v11, v7
	;; [unrolled: 1-line block ×3, first 2 shown]
	s_mov_b32 s11, 0
	s_inst_prefetch 0x1
	s_branch .LBB5_141
	.p2align	6
.LBB5_140:                              ;   in Loop: Header=BB5_141 Depth=2
	s_or_b32 exec_lo, exec_lo, s14
	v_add_nc_u32_e32 v3, 64, v3
	v_add_nc_u32_e32 v11, s8, v11
	;; [unrolled: 1-line block ×3, first 2 shown]
	v_cmp_le_i32_e32 vcc_lo, s28, v3
	s_or_b32 s11, vcc_lo, s11
	s_andn2_b32 exec_lo, exec_lo, s11
	s_cbranch_execz .LBB5_148
.LBB5_141:                              ;   Parent Loop BB5_138 Depth=1
                                        ; =>  This Loop Header: Depth=2
                                        ;       Child Loop BB5_144 Depth 3
	s_and_saveexec_b32 s14, s1
	s_cbranch_execz .LBB5_140
; %bb.142:                              ;   in Loop: Header=BB5_141 Depth=2
	v_mov_b32_e32 v12, v10
	v_mov_b32_e32 v13, v1
	s_mov_b32 s15, 0
	s_branch .LBB5_144
	.p2align	6
.LBB5_143:                              ;   in Loop: Header=BB5_144 Depth=3
	v_ashrrev_i32_e32 v5, 31, v4
	v_add_nc_u32_e32 v13, 1, v13
	v_lshlrev_b64 v[4:5], 2, v[4:5]
	v_add_co_u32 v4, vcc_lo, s12, v4
	v_add_co_ci_u32_e64 v5, null, s13, v5, vcc_lo
	v_cmp_le_i32_e32 vcc_lo, s28, v13
	global_load_dword v4, v[4:5], off
	s_or_b32 s15, vcc_lo, s15
	s_waitcnt vmcnt(0)
	ds_write_b32 v12, v4
	v_add_nc_u32_e32 v12, 0x104, v12
	s_andn2_b32 exec_lo, exec_lo, s15
	s_cbranch_execz .LBB5_140
.LBB5_144:                              ;   Parent Loop BB5_138 Depth=1
                                        ;     Parent Loop BB5_141 Depth=2
                                        ; =>    This Inner Loop Header: Depth=3
	s_and_b32 vcc_lo, exec_lo, s4
	s_cbranch_vccz .LBB5_146
; %bb.145:                              ;   in Loop: Header=BB5_144 Depth=3
	v_add_nc_u32_e32 v4, s10, v13
	v_mad_u64_u32 v[4:5], null, v4, s28, v[3:4]
	s_cbranch_execnz .LBB5_143
	s_branch .LBB5_147
	.p2align	6
.LBB5_146:                              ;   in Loop: Header=BB5_144 Depth=3
                                        ; implicit-def: $vgpr4
.LBB5_147:                              ;   in Loop: Header=BB5_144 Depth=3
	v_add_nc_u32_e32 v4, v11, v13
	s_branch .LBB5_143
.LBB5_148:                              ;   in Loop: Header=BB5_138 Depth=1
	s_inst_prefetch 0x2
	s_or_b32 exec_lo, exec_lo, s2
	s_andn2_b32 vcc_lo, exec_lo, s6
	s_waitcnt lgkmcnt(0)
	buffer_gl0_inv
	s_cbranch_vccnz .LBB5_159
; %bb.149:                              ;   in Loop: Header=BB5_138 Depth=1
	v_mov_b32_e32 v5, v9
	v_mov_b32_e32 v10, v2
	s_mov_b32 s11, 0
	s_branch .LBB5_151
.LBB5_150:                              ;   in Loop: Header=BB5_151 Depth=2
	s_or_b32 exec_lo, exec_lo, s14
	v_add_nc_u32_e32 v10, s9, v10
	v_add_nc_u32_e32 v5, 4, v5
	s_add_i32 s11, s11, 1
	s_cmp_eq_u32 s11, s28
	s_cbranch_scc1 .LBB5_159
.LBB5_151:                              ;   Parent Loop BB5_138 Depth=1
                                        ; =>  This Loop Header: Depth=2
                                        ;       Child Loop BB5_154 Depth 3
                                        ;         Child Loop BB5_157 Depth 4
	s_and_saveexec_b32 s14, s0
	s_cbranch_execz .LBB5_150
; %bb.152:                              ;   in Loop: Header=BB5_151 Depth=2
	v_add_nc_u32_e32 v11, s11, v6
	v_mov_b32_e32 v12, v5
	v_mov_b32_e32 v13, v0
	s_add_i32 s15, s11, s5
	s_mov_b32 s16, 0
	v_cmp_gt_i32_e64 s2, s28, v11
	s_mul_i32 s15, s15, s28
	s_branch .LBB5_154
.LBB5_153:                              ;   in Loop: Header=BB5_154 Depth=3
	s_inst_prefetch 0x2
	s_or_b32 exec_lo, exec_lo, s17
	v_add_nc_u32_e32 v13, 64, v13
	v_add_nc_u32_e32 v12, 0x4100, v12
	v_cmp_le_i32_e32 vcc_lo, s28, v13
	s_or_b32 s16, vcc_lo, s16
	s_andn2_b32 exec_lo, exec_lo, s16
	s_cbranch_execz .LBB5_150
.LBB5_154:                              ;   Parent Loop BB5_138 Depth=1
                                        ;     Parent Loop BB5_151 Depth=2
                                        ; =>    This Loop Header: Depth=3
                                        ;         Child Loop BB5_157 Depth 4
	s_and_saveexec_b32 s17, s2
	s_cbranch_execz .LBB5_153
; %bb.155:                              ;   in Loop: Header=BB5_154 Depth=3
	v_mul_lo_u32 v3, 0x104, v13
	v_mov_b32_e32 v14, v12
	v_mov_b32_e32 v15, v10
	;; [unrolled: 1-line block ×3, first 2 shown]
	s_mov_b32 s25, 0
	v_lshl_add_u32 v16, s11, 2, v3
	s_inst_prefetch 0x1
	s_branch .LBB5_157
	.p2align	6
.LBB5_156:                              ;   in Loop: Header=BB5_157 Depth=4
	v_ashrrev_i32_e32 v4, 31, v3
	v_add_nc_u32_e32 v17, 1, v17
	v_add_nc_u32_e32 v15, s28, v15
	v_lshlrev_b64 v[3:4], 2, v[3:4]
	v_add_co_u32 v3, vcc_lo, s12, v3
	v_add_co_ci_u32_e64 v4, null, s13, v4, vcc_lo
	v_cmp_le_i32_e32 vcc_lo, s28, v17
	global_load_dword v3, v[3:4], off
	ds_read_b32 v4, v16
	ds_read_b32 v18, v14
	s_or_b32 s25, vcc_lo, s25
	s_waitcnt vmcnt(0) lgkmcnt(0)
	v_fma_f32 v3, -v3, v4, v18
	ds_write_b32 v14, v3
	v_add_nc_u32_e32 v14, 4, v14
	s_andn2_b32 exec_lo, exec_lo, s25
	s_cbranch_execz .LBB5_153
.LBB5_157:                              ;   Parent Loop BB5_138 Depth=1
                                        ;     Parent Loop BB5_151 Depth=2
                                        ;       Parent Loop BB5_154 Depth=3
                                        ; =>      This Inner Loop Header: Depth=4
	v_mov_b32_e32 v3, v15
	s_andn2_b32 vcc_lo, exec_lo, s4
	s_cbranch_vccnz .LBB5_156
; %bb.158:                              ;   in Loop: Header=BB5_157 Depth=4
	v_add_nc_u32_e32 v3, s15, v17
	s_branch .LBB5_156
.LBB5_159:                              ;   in Loop: Header=BB5_138 Depth=1
	s_waitcnt lgkmcnt(0)
	buffer_gl0_inv
	s_and_saveexec_b32 s11, s0
	s_cbranch_execz .LBB5_169
; %bb.160:                              ;   in Loop: Header=BB5_138 Depth=1
	v_mov_b32_e32 v10, v8
	v_mov_b32_e32 v11, v7
	;; [unrolled: 1-line block ×3, first 2 shown]
	s_mov_b32 s14, 0
	s_inst_prefetch 0x1
	s_branch .LBB5_162
	.p2align	6
.LBB5_161:                              ;   in Loop: Header=BB5_162 Depth=2
	s_or_b32 exec_lo, exec_lo, s15
	v_add_nc_u32_e32 v3, 64, v3
	v_add_nc_u32_e32 v11, s8, v11
	;; [unrolled: 1-line block ×3, first 2 shown]
	v_cmp_le_i32_e32 vcc_lo, s28, v3
	s_or_b32 s14, vcc_lo, s14
	s_andn2_b32 exec_lo, exec_lo, s14
	s_cbranch_execz .LBB5_169
.LBB5_162:                              ;   Parent Loop BB5_138 Depth=1
                                        ; =>  This Loop Header: Depth=2
                                        ;       Child Loop BB5_165 Depth 3
	s_and_saveexec_b32 s15, s1
	s_cbranch_execz .LBB5_161
; %bb.163:                              ;   in Loop: Header=BB5_162 Depth=2
	v_mov_b32_e32 v12, v10
	v_mov_b32_e32 v13, v1
	s_mov_b32 s16, 0
	s_branch .LBB5_165
	.p2align	6
.LBB5_164:                              ;   in Loop: Header=BB5_165 Depth=3
	v_ashrrev_i32_e32 v5, 31, v4
	v_add_nc_u32_e32 v13, 1, v13
	v_add_nc_u32_e32 v12, 0x104, v12
	v_lshlrev_b64 v[4:5], 2, v[4:5]
	v_cmp_le_i32_e32 vcc_lo, s28, v13
	s_or_b32 s16, vcc_lo, s16
	v_add_co_u32 v4, s2, s12, v4
	v_add_co_ci_u32_e64 v5, null, s13, v5, s2
	s_waitcnt lgkmcnt(0)
	global_store_dword v[4:5], v14, off
	s_andn2_b32 exec_lo, exec_lo, s16
	s_cbranch_execz .LBB5_161
.LBB5_165:                              ;   Parent Loop BB5_138 Depth=1
                                        ;     Parent Loop BB5_162 Depth=2
                                        ; =>    This Inner Loop Header: Depth=3
	ds_read_b32 v14, v12
	s_and_b32 vcc_lo, exec_lo, s4
	s_cbranch_vccz .LBB5_167
; %bb.166:                              ;   in Loop: Header=BB5_165 Depth=3
	v_add_nc_u32_e32 v4, s10, v13
	v_mad_u64_u32 v[4:5], null, v4, s28, v[3:4]
	s_cbranch_execnz .LBB5_164
	s_branch .LBB5_168
	.p2align	6
.LBB5_167:                              ;   in Loop: Header=BB5_165 Depth=3
                                        ; implicit-def: $vgpr4
.LBB5_168:                              ;   in Loop: Header=BB5_165 Depth=3
	v_add_nc_u32_e32 v4, v11, v13
	s_branch .LBB5_164
.LBB5_169:                              ;   in Loop: Header=BB5_138 Depth=1
	s_inst_prefetch 0x2
	s_or_b32 exec_lo, exec_lo, s11
; %bb.170:                              ;   in Loop: Header=BB5_138 Depth=1
	v_add_nc_u32_e32 v7, s7, v7
	s_add_i32 s3, s3, 1
	s_cmp_ge_i32 s3, s23
	s_cbranch_scc0 .LBB5_138
.LBB5_171:
	v_or_b32_e32 v0, v0, v1
	s_mov_b32 s0, exec_lo
	v_cmpx_eq_u32_e32 0, v0
	s_cbranch_execz .LBB5_175
; %bb.172:
	v_mov_b32_e32 v0, 0
	v_mov_b32_e32 v1, 1
	s_add_u32 s0, s20, s26
	s_addc_u32 s1, s21, s27
	s_andn2_b32 vcc_lo, exec_lo, s29
	s_waitcnt vmcnt(0)
	s_waitcnt_vscnt null, 0x0
	global_store_dword v0, v1, s[0:1]
	s_cbranch_vccnz .LBB5_175
; %bb.173:
	v_mbcnt_lo_u32_b32 v0, exec_lo, 0
	v_cmp_eq_u32_e32 vcc_lo, 0, v0
	s_and_b32 exec_lo, exec_lo, vcc_lo
	s_cbranch_execz .LBB5_175
; %bb.174:
	s_add_i32 s0, s22, s24
	v_mov_b32_e32 v0, 0
	v_mov_b32_e32 v1, s0
	global_atomic_smin v0, v1, s[18:19]
.LBB5_175:
	s_endpgm
	.section	.rodata,"a",@progbits
	.p2align	6, 0x0
	.amdhsa_kernel _ZN9rocsparseL13bsrilu0_33_64ILj64ELj64ELj64EfEEv20rocsparse_direction_iPKiS3_PT2_S3_iPiS3_S6_21rocsparse_index_base_imNS_24const_host_device_scalarIfEENS8_IdEENS8_IS4_EEb
		.amdhsa_group_segment_fixed_size 16640
		.amdhsa_private_segment_fixed_size 0
		.amdhsa_kernarg_size 116
		.amdhsa_user_sgpr_count 6
		.amdhsa_user_sgpr_private_segment_buffer 1
		.amdhsa_user_sgpr_dispatch_ptr 0
		.amdhsa_user_sgpr_queue_ptr 0
		.amdhsa_user_sgpr_kernarg_segment_ptr 1
		.amdhsa_user_sgpr_dispatch_id 0
		.amdhsa_user_sgpr_flat_scratch_init 0
		.amdhsa_user_sgpr_private_segment_size 0
		.amdhsa_wavefront_size32 1
		.amdhsa_uses_dynamic_stack 0
		.amdhsa_system_sgpr_private_segment_wavefront_offset 0
		.amdhsa_system_sgpr_workgroup_id_x 1
		.amdhsa_system_sgpr_workgroup_id_y 0
		.amdhsa_system_sgpr_workgroup_id_z 0
		.amdhsa_system_sgpr_workgroup_info 0
		.amdhsa_system_vgpr_workitem_id 1
		.amdhsa_next_free_vgpr 193
		.amdhsa_next_free_sgpr 48
		.amdhsa_reserve_vcc 1
		.amdhsa_reserve_flat_scratch 0
		.amdhsa_float_round_mode_32 0
		.amdhsa_float_round_mode_16_64 0
		.amdhsa_float_denorm_mode_32 3
		.amdhsa_float_denorm_mode_16_64 3
		.amdhsa_dx10_clamp 1
		.amdhsa_ieee_mode 1
		.amdhsa_fp16_overflow 0
		.amdhsa_workgroup_processor_mode 1
		.amdhsa_memory_ordered 1
		.amdhsa_forward_progress 1
		.amdhsa_shared_vgpr_count 0
		.amdhsa_exception_fp_ieee_invalid_op 0
		.amdhsa_exception_fp_denorm_src 0
		.amdhsa_exception_fp_ieee_div_zero 0
		.amdhsa_exception_fp_ieee_overflow 0
		.amdhsa_exception_fp_ieee_underflow 0
		.amdhsa_exception_fp_ieee_inexact 0
		.amdhsa_exception_int_div_zero 0
	.end_amdhsa_kernel
	.section	.text._ZN9rocsparseL13bsrilu0_33_64ILj64ELj64ELj64EfEEv20rocsparse_direction_iPKiS3_PT2_S3_iPiS3_S6_21rocsparse_index_base_imNS_24const_host_device_scalarIfEENS8_IdEENS8_IS4_EEb,"axG",@progbits,_ZN9rocsparseL13bsrilu0_33_64ILj64ELj64ELj64EfEEv20rocsparse_direction_iPKiS3_PT2_S3_iPiS3_S6_21rocsparse_index_base_imNS_24const_host_device_scalarIfEENS8_IdEENS8_IS4_EEb,comdat
.Lfunc_end5:
	.size	_ZN9rocsparseL13bsrilu0_33_64ILj64ELj64ELj64EfEEv20rocsparse_direction_iPKiS3_PT2_S3_iPiS3_S6_21rocsparse_index_base_imNS_24const_host_device_scalarIfEENS8_IdEENS8_IS4_EEb, .Lfunc_end5-_ZN9rocsparseL13bsrilu0_33_64ILj64ELj64ELj64EfEEv20rocsparse_direction_iPKiS3_PT2_S3_iPiS3_S6_21rocsparse_index_base_imNS_24const_host_device_scalarIfEENS8_IdEENS8_IS4_EEb
                                        ; -- End function
	.set _ZN9rocsparseL13bsrilu0_33_64ILj64ELj64ELj64EfEEv20rocsparse_direction_iPKiS3_PT2_S3_iPiS3_S6_21rocsparse_index_base_imNS_24const_host_device_scalarIfEENS8_IdEENS8_IS4_EEb.num_vgpr, 31
	.set _ZN9rocsparseL13bsrilu0_33_64ILj64ELj64ELj64EfEEv20rocsparse_direction_iPKiS3_PT2_S3_iPiS3_S6_21rocsparse_index_base_imNS_24const_host_device_scalarIfEENS8_IdEENS8_IS4_EEb.num_agpr, 0
	.set _ZN9rocsparseL13bsrilu0_33_64ILj64ELj64ELj64EfEEv20rocsparse_direction_iPKiS3_PT2_S3_iPiS3_S6_21rocsparse_index_base_imNS_24const_host_device_scalarIfEENS8_IdEENS8_IS4_EEb.numbered_sgpr, 48
	.set _ZN9rocsparseL13bsrilu0_33_64ILj64ELj64ELj64EfEEv20rocsparse_direction_iPKiS3_PT2_S3_iPiS3_S6_21rocsparse_index_base_imNS_24const_host_device_scalarIfEENS8_IdEENS8_IS4_EEb.num_named_barrier, 0
	.set _ZN9rocsparseL13bsrilu0_33_64ILj64ELj64ELj64EfEEv20rocsparse_direction_iPKiS3_PT2_S3_iPiS3_S6_21rocsparse_index_base_imNS_24const_host_device_scalarIfEENS8_IdEENS8_IS4_EEb.private_seg_size, 0
	.set _ZN9rocsparseL13bsrilu0_33_64ILj64ELj64ELj64EfEEv20rocsparse_direction_iPKiS3_PT2_S3_iPiS3_S6_21rocsparse_index_base_imNS_24const_host_device_scalarIfEENS8_IdEENS8_IS4_EEb.uses_vcc, 1
	.set _ZN9rocsparseL13bsrilu0_33_64ILj64ELj64ELj64EfEEv20rocsparse_direction_iPKiS3_PT2_S3_iPiS3_S6_21rocsparse_index_base_imNS_24const_host_device_scalarIfEENS8_IdEENS8_IS4_EEb.uses_flat_scratch, 0
	.set _ZN9rocsparseL13bsrilu0_33_64ILj64ELj64ELj64EfEEv20rocsparse_direction_iPKiS3_PT2_S3_iPiS3_S6_21rocsparse_index_base_imNS_24const_host_device_scalarIfEENS8_IdEENS8_IS4_EEb.has_dyn_sized_stack, 0
	.set _ZN9rocsparseL13bsrilu0_33_64ILj64ELj64ELj64EfEEv20rocsparse_direction_iPKiS3_PT2_S3_iPiS3_S6_21rocsparse_index_base_imNS_24const_host_device_scalarIfEENS8_IdEENS8_IS4_EEb.has_recursion, 0
	.set _ZN9rocsparseL13bsrilu0_33_64ILj64ELj64ELj64EfEEv20rocsparse_direction_iPKiS3_PT2_S3_iPiS3_S6_21rocsparse_index_base_imNS_24const_host_device_scalarIfEENS8_IdEENS8_IS4_EEb.has_indirect_call, 0
	.section	.AMDGPU.csdata,"",@progbits
; Kernel info:
; codeLenInByte = 5188
; TotalNumSgprs: 50
; NumVgprs: 31
; ScratchSize: 0
; MemoryBound: 0
; FloatMode: 240
; IeeeMode: 1
; LDSByteSize: 16640 bytes/workgroup (compile time only)
; SGPRBlocks: 0
; VGPRBlocks: 24
; NumSGPRsForWavesPerEU: 50
; NumVGPRsForWavesPerEU: 193
; Occupancy: 4
; WaveLimiterHint : 1
; COMPUTE_PGM_RSRC2:SCRATCH_EN: 0
; COMPUTE_PGM_RSRC2:USER_SGPR: 6
; COMPUTE_PGM_RSRC2:TRAP_HANDLER: 0
; COMPUTE_PGM_RSRC2:TGID_X_EN: 1
; COMPUTE_PGM_RSRC2:TGID_Y_EN: 0
; COMPUTE_PGM_RSRC2:TGID_Z_EN: 0
; COMPUTE_PGM_RSRC2:TIDIG_COMP_CNT: 1
	.section	.text._ZN9rocsparseL15bsrilu0_generalILj128ELj64ELb0EfEEv20rocsparse_direction_iPKiS3_PT2_S3_iPiS3_S6_21rocsparse_index_base_imNS_24const_host_device_scalarIfEENS8_IdEENS8_IS4_EEb,"axG",@progbits,_ZN9rocsparseL15bsrilu0_generalILj128ELj64ELb0EfEEv20rocsparse_direction_iPKiS3_PT2_S3_iPiS3_S6_21rocsparse_index_base_imNS_24const_host_device_scalarIfEENS8_IdEENS8_IS4_EEb,comdat
	.globl	_ZN9rocsparseL15bsrilu0_generalILj128ELj64ELb0EfEEv20rocsparse_direction_iPKiS3_PT2_S3_iPiS3_S6_21rocsparse_index_base_imNS_24const_host_device_scalarIfEENS8_IdEENS8_IS4_EEb ; -- Begin function _ZN9rocsparseL15bsrilu0_generalILj128ELj64ELb0EfEEv20rocsparse_direction_iPKiS3_PT2_S3_iPiS3_S6_21rocsparse_index_base_imNS_24const_host_device_scalarIfEENS8_IdEENS8_IS4_EEb
	.p2align	8
	.type	_ZN9rocsparseL15bsrilu0_generalILj128ELj64ELb0EfEEv20rocsparse_direction_iPKiS3_PT2_S3_iPiS3_S6_21rocsparse_index_base_imNS_24const_host_device_scalarIfEENS8_IdEENS8_IS4_EEb,@function
_ZN9rocsparseL15bsrilu0_generalILj128ELj64ELb0EfEEv20rocsparse_direction_iPKiS3_PT2_S3_iPiS3_S6_21rocsparse_index_base_imNS_24const_host_device_scalarIfEENS8_IdEENS8_IS4_EEb: ; @_ZN9rocsparseL15bsrilu0_generalILj128ELj64ELb0EfEEv20rocsparse_direction_iPKiS3_PT2_S3_iPiS3_S6_21rocsparse_index_base_imNS_24const_host_device_scalarIfEENS8_IdEENS8_IS4_EEb
; %bb.0:
	s_clause 0x2
	s_load_dword s0, s[4:5], 0x70
	s_load_dwordx2 s[24:25], s[4:5], 0x48
	s_load_dwordx8 s[16:23], s[4:5], 0x50
	s_waitcnt lgkmcnt(0)
	s_bitcmp1_b32 s0, 0
	s_cselect_b32 s0, -1, 0
	s_cmp_eq_u32 s25, 0
	s_cselect_b32 s2, -1, 0
	s_cmp_lg_u32 s25, 0
	s_cselect_b32 s25, -1, 0
	s_or_b32 s7, s2, s0
	s_xor_b32 s3, s7, -1
	s_and_b32 s0, s2, exec_lo
	s_cselect_b32 s1, 0, s21
	s_cselect_b32 s0, 0, s20
	s_and_b32 vcc_lo, exec_lo, s7
	s_cbranch_vccnz .LBB6_2
; %bb.1:
	s_load_dword s0, s[18:19], 0x0
	s_waitcnt lgkmcnt(0)
	v_mov_b32_e32 v19, s0
	s_mov_b64 s[0:1], s[20:21]
	s_branch .LBB6_3
.LBB6_2:
	v_cndmask_b32_e64 v19, s18, 0, s2
.LBB6_3:
	v_mov_b32_e32 v7, s1
	v_cndmask_b32_e64 v1, 0, 1, s3
	v_mov_b32_e32 v6, s0
	s_andn2_b32 vcc_lo, exec_lo, s3
	s_cbranch_vccnz .LBB6_5
; %bb.4:
	v_mov_b32_e32 v2, s20
	v_mov_b32_e32 v3, s21
	flat_load_dwordx2 v[6:7], v[2:3]
.LBB6_5:
	v_cmp_ne_u32_e32 vcc_lo, 1, v1
	s_cbranch_vccnz .LBB6_7
; %bb.6:
	s_load_dword s0, s[22:23], 0x0
	s_waitcnt lgkmcnt(0)
	v_mov_b32_e32 v18, s0
	s_branch .LBB6_8
.LBB6_7:
	v_cndmask_b32_e64 v18, s22, 0, s2
.LBB6_8:
	s_load_dwordx2 s[26:27], s[4:5], 0x0
	v_lshrrev_b32_e32 v1, 6, v0
	s_lshl_b32 s0, s6, 1
	v_and_or_b32 v1, 0x3fffffe, s0, v1
	s_mov_b32 s0, exec_lo
	s_waitcnt lgkmcnt(0)
	v_cmpx_gt_i32_e64 s27, v1
	s_cbranch_execz .LBB6_141
; %bb.9:
	s_clause 0x1
	s_load_dwordx4 s[20:23], s[4:5], 0x30
	s_load_dwordx2 s[6:7], s[4:5], 0x40
	v_lshlrev_b32_e32 v1, 2, v1
	s_load_dwordx8 s[8:15], s[4:5], 0x8
	v_and_b32_e32 v0, 63, v0
	s_mov_b32 s0, -1
	s_mov_b32 s19, exec_lo
	s_waitcnt lgkmcnt(0)
	global_load_dword v1, v1, s[22:23]
	s_waitcnt vmcnt(0)
	v_ashrrev_i32_e32 v2, 31, v1
	v_lshlrev_b64 v[2:3], 2, v[1:2]
	v_add_co_u32 v4, vcc_lo, s14, v2
	v_add_co_ci_u32_e64 v5, null, s15, v3, vcc_lo
	global_load_dword v4, v[4:5], off
	s_waitcnt vmcnt(0)
	v_cmpx_ne_u32_e32 -1, v4
	s_cbranch_execz .LBB6_135
; %bb.10:
	v_add_co_u32 v8, vcc_lo, s8, v2
	v_add_co_ci_u32_e64 v9, null, s9, v3, vcc_lo
	s_load_dword s18, s[4:5], 0x28
	s_mov_b32 s3, 0
	s_mov_b32 s5, exec_lo
	global_load_dwordx2 v[8:9], v[8:9], off
	s_waitcnt vmcnt(0)
	v_subrev_nc_u32_e32 v8, s24, v8
	v_subrev_nc_u32_e32 v17, s24, v9
	v_cmpx_lt_i32_e64 v8, v4
	s_cbranch_execz .LBB6_76
; %bb.11:
	v_add_nc_u32_e32 v10, v8, v0
	s_waitcnt lgkmcnt(0)
	v_mad_u64_u32 v[12:13], null, s18, v8, v[0:1]
	s_cmp_gt_i32 s18, 0
	v_cmp_gt_i32_e64 s0, s18, v0
	v_ashrrev_i32_e32 v11, 31, v10
	v_cmp_le_i32_e64 s1, s18, v0
	v_cmp_lt_i32_e64 s2, v10, v17
	s_cselect_b32 s22, -1, 0
	v_mul_lo_u32 v20, s18, v12
	v_lshlrev_b64 v[13:14], 2, v[10:11]
	s_cmp_lg_u32 s26, 0
	s_mov_b32 s28, 0
	s_cselect_b32 s23, -1, 0
	s_add_i32 s27, s27, 1
	s_mul_i32 s29, s18, s18
	v_add_co_u32 v11, vcc_lo, s10, v13
	v_add_co_ci_u32_e64 v12, null, s11, v14, vcc_lo
	v_add_nc_u32_e32 v21, 1, v20
	s_add_i32 s30, s18, 1
	s_lshl_b32 s31, s18, 6
	s_add_i32 s33, s18, -1
	s_mov_b32 s34, 0
                                        ; implicit-def: $sgpr35
                                        ; implicit-def: $sgpr36
	s_branch .LBB6_14
.LBB6_12:                               ;   in Loop: Header=BB6_14 Depth=1
	s_or_b32 exec_lo, exec_lo, s4
	s_andn2_b32 s4, s36, exec_lo
	s_and_b32 s28, s28, exec_lo
	s_or_b32 s36, s4, s28
.LBB6_13:                               ;   in Loop: Header=BB6_14 Depth=1
	s_or_b32 exec_lo, exec_lo, s37
	v_add_nc_u32_e32 v8, 1, v8
	s_xor_b32 s3, s3, -1
	v_add_nc_u32_e32 v21, s29, v21
	v_add_nc_u32_e32 v20, s29, v20
	s_mov_b32 s28, s36
	v_cmp_ge_i32_e32 vcc_lo, v8, v4
	s_or_b32 s3, s3, vcc_lo
	s_and_b32 s3, exec_lo, s3
	s_or_b32 s34, s3, s34
	s_andn2_b32 s3, s35, exec_lo
	s_and_b32 s4, s36, exec_lo
	s_or_b32 s35, s3, s4
	s_andn2_b32 exec_lo, exec_lo, s34
	s_cbranch_execz .LBB6_75
.LBB6_14:                               ; =>This Loop Header: Depth=1
                                        ;     Child Loop BB6_17 Depth 2
                                        ;     Child Loop BB6_22 Depth 2
                                        ;       Child Loop BB6_27 Depth 3
                                        ;         Child Loop BB6_36 Depth 4
                                        ;     Child Loop BB6_49 Depth 2
                                        ;       Child Loop BB6_54 Depth 3
                                        ;       Child Loop BB6_61 Depth 3
                                        ;         Child Loop BB6_63 Depth 4
                                        ;           Child Loop BB6_65 Depth 5
	v_ashrrev_i32_e32 v9, 31, v8
	s_or_b32 s36, s36, exec_lo
	v_lshlrev_b64 v[13:14], 2, v[8:9]
	v_add_co_u32 v13, vcc_lo, s10, v13
	v_add_co_ci_u32_e64 v14, null, s11, v14, vcc_lo
	s_waitcnt lgkmcnt(0)
	global_load_dword v5, v[13:14], off
	s_waitcnt vmcnt(0)
	v_subrev_nc_u32_e32 v13, s24, v5
	v_ashrrev_i32_e32 v14, 31, v13
	v_lshlrev_b64 v[13:14], 2, v[13:14]
	v_add_co_u32 v15, vcc_lo, s14, v13
	v_add_co_ci_u32_e64 v16, null, s15, v14, vcc_lo
	global_load_dword v23, v[15:16], off
	s_waitcnt vmcnt(0)
	v_cmp_ne_u32_e64 s3, -1, v23
	s_and_saveexec_b32 s37, s3
	s_cbranch_execz .LBB6_13
; %bb.15:                               ;   in Loop: Header=BB6_14 Depth=1
	v_add_co_u32 v15, vcc_lo, s8, v13
	v_add_co_ci_u32_e64 v16, null, s9, v14, vcc_lo
	v_add_co_u32 v13, vcc_lo, s20, v13
	v_add_co_ci_u32_e64 v14, null, s21, v14, vcc_lo
	global_load_dword v24, v[15:16], off offset:4
	global_load_dword v5, v[13:14], off glc dlc
	s_mov_b32 s4, exec_lo
	s_waitcnt vmcnt(0)
	v_cmpx_eq_u32_e32 0, v5
	s_cbranch_execz .LBB6_18
; %bb.16:                               ;   in Loop: Header=BB6_14 Depth=1
	s_mov_b32 s38, 0
.LBB6_17:                               ;   Parent Loop BB6_14 Depth=1
                                        ; =>  This Inner Loop Header: Depth=2
	global_load_dword v5, v[13:14], off glc dlc
	s_waitcnt vmcnt(0)
	v_cmp_ne_u32_e32 vcc_lo, 0, v5
	s_or_b32 s38, vcc_lo, s38
	s_andn2_b32 exec_lo, exec_lo, s38
	s_cbranch_execnz .LBB6_17
.LBB6_18:                               ;   in Loop: Header=BB6_14 Depth=1
	s_or_b32 exec_lo, exec_lo, s4
	v_mul_lo_u32 v22, v8, s18
	s_andn2_b32 vcc_lo, exec_lo, s22
	buffer_gl1_inv
	buffer_gl0_inv
	s_cbranch_vccnz .LBB6_45
; %bb.19:                               ;   in Loop: Header=BB6_14 Depth=1
	v_mul_lo_u32 v25, v23, s18
	v_mad_u64_u32 v[13:14], null, s29, v23, 1
	v_mov_b32_e32 v5, 0
	v_mov_b32_e32 v26, v21
	s_mov_b32 s38, 0
	s_mov_b32 s39, s33
	s_branch .LBB6_22
.LBB6_20:                               ;   in Loop: Header=BB6_22 Depth=2
	s_or_b32 exec_lo, exec_lo, s41
	v_mov_b32_e32 v5, v27
.LBB6_21:                               ;   in Loop: Header=BB6_22 Depth=2
	s_or_b32 exec_lo, exec_lo, s40
	v_cmp_eq_u32_e32 vcc_lo, s18, v5
	v_add_nc_u32_e32 v13, s30, v13
	v_add_nc_u32_e32 v26, 1, v26
	s_add_i32 s39, s39, -1
	s_or_b32 s38, vcc_lo, s38
	s_andn2_b32 exec_lo, exec_lo, s38
	s_cbranch_execz .LBB6_44
.LBB6_22:                               ;   Parent Loop BB6_14 Depth=1
                                        ; =>  This Loop Header: Depth=2
                                        ;       Child Loop BB6_27 Depth 3
                                        ;         Child Loop BB6_36 Depth 4
	v_add_nc_u32_e32 v27, 1, v5
	s_and_saveexec_b32 s4, s1
	s_xor_b32 s4, exec_lo, s4
; %bb.23:                               ;   in Loop: Header=BB6_22 Depth=2
	v_add_nc_u32_e32 v5, 1, v5
                                        ; implicit-def: $vgpr27
; %bb.24:                               ;   in Loop: Header=BB6_22 Depth=2
	s_andn2_saveexec_b32 s40, s4
	s_cbranch_execz .LBB6_21
; %bb.25:                               ;   in Loop: Header=BB6_22 Depth=2
	v_add_nc_u32_e32 v9, v5, v25
	v_cmp_gt_i32_e64 s4, s18, v27
	v_mov_b32_e32 v30, v26
	s_mov_b32 s41, 0
	v_mad_u64_u32 v[14:15], null, v9, s18, v[5:6]
	v_add_nc_u32_e32 v9, v5, v22
	v_mul_lo_u32 v29, v9, s18
	v_ashrrev_i32_e32 v15, 31, v14
	v_mov_b32_e32 v9, v0
	v_lshlrev_b64 v[14:15], 2, v[14:15]
	v_add_co_u32 v14, vcc_lo, s12, v14
	v_add_co_ci_u32_e64 v15, null, s13, v15, vcc_lo
	global_load_dword v28, v[14:15], off
	s_branch .LBB6_27
.LBB6_26:                               ;   in Loop: Header=BB6_27 Depth=3
	s_or_b32 exec_lo, exec_lo, s42
	v_add_nc_u32_e32 v9, 64, v9
	v_add_nc_u32_e32 v30, s31, v30
	v_cmp_le_i32_e32 vcc_lo, s18, v9
	s_or_b32 s41, vcc_lo, s41
	s_andn2_b32 exec_lo, exec_lo, s41
	s_cbranch_execz .LBB6_20
.LBB6_27:                               ;   Parent Loop BB6_14 Depth=1
                                        ;     Parent Loop BB6_22 Depth=2
                                        ; =>    This Loop Header: Depth=3
                                        ;         Child Loop BB6_36 Depth 4
	v_add_nc_u32_e32 v14, v9, v29
	s_and_b32 vcc_lo, exec_lo, s23
	s_cbranch_vccz .LBB6_42
; %bb.28:                               ;   in Loop: Header=BB6_27 Depth=3
	v_add_nc_u32_e32 v15, v9, v29
	v_add_nc_u32_e32 v31, v9, v22
	s_cbranch_execnz .LBB6_30
.LBB6_29:                               ;   in Loop: Header=BB6_27 Depth=3
	v_mad_u64_u32 v[15:16], null, v31, s18, v[5:6]
.LBB6_30:                               ;   in Loop: Header=BB6_27 Depth=3
	v_ashrrev_i32_e32 v16, 31, v15
	v_lshlrev_b64 v[15:16], 2, v[15:16]
	v_add_co_u32 v15, vcc_lo, s12, v15
	v_add_co_ci_u32_e64 v16, null, s13, v16, vcc_lo
	s_and_b32 vcc_lo, exec_lo, s23
	global_load_dword v16, v[15:16], off
	s_cbranch_vccz .LBB6_43
; %bb.31:                               ;   in Loop: Header=BB6_27 Depth=3
	s_cbranch_execnz .LBB6_33
.LBB6_32:                               ;   in Loop: Header=BB6_27 Depth=3
	v_mad_u64_u32 v[14:15], null, v31, s18, v[5:6]
.LBB6_33:                               ;   in Loop: Header=BB6_27 Depth=3
	s_waitcnt vmcnt(0)
	v_div_scale_f32 v15, null, v28, v28, v16
	v_div_scale_f32 v33, vcc_lo, v16, v28, v16
	v_rcp_f32_e32 v31, v15
	v_fma_f32 v32, -v15, v31, 1.0
	v_fmac_f32_e32 v31, v32, v31
	v_mul_f32_e32 v32, v33, v31
	v_fma_f32 v34, -v15, v32, v33
	v_fmac_f32_e32 v32, v34, v31
	v_fma_f32 v33, -v15, v32, v33
	v_ashrrev_i32_e32 v15, 31, v14
	v_div_fmas_f32 v31, v33, v31, v32
	v_lshlrev_b64 v[14:15], 2, v[14:15]
	v_div_fixup_f32 v16, v31, v28, v16
	v_add_co_u32 v14, vcc_lo, s12, v14
	v_add_co_ci_u32_e64 v15, null, s13, v15, vcc_lo
	global_store_dword v[14:15], v16, off
	s_and_saveexec_b32 s42, s4
	s_cbranch_execz .LBB6_26
; %bb.34:                               ;   in Loop: Header=BB6_27 Depth=3
	v_mov_b32_e32 v31, v30
	v_mov_b32_e32 v32, v13
	;; [unrolled: 1-line block ×3, first 2 shown]
	s_mov_b32 s43, s39
	s_branch .LBB6_36
.LBB6_35:                               ;   in Loop: Header=BB6_36 Depth=4
	v_ashrrev_i32_e32 v15, 31, v14
	s_waitcnt vmcnt(0)
	v_fma_f32 v34, -v16, v34, v36
	v_add_nc_u32_e32 v33, 1, v33
	v_add_nc_u32_e32 v32, 1, v32
	;; [unrolled: 1-line block ×3, first 2 shown]
	v_lshlrev_b64 v[14:15], 2, v[14:15]
	s_add_i32 s43, s43, -1
	s_cmp_eq_u32 s43, 0
	v_add_co_u32 v14, vcc_lo, s12, v14
	v_add_co_ci_u32_e64 v15, null, s13, v15, vcc_lo
	global_store_dword v[14:15], v34, off
	s_cbranch_scc1 .LBB6_26
.LBB6_36:                               ;   Parent Loop BB6_14 Depth=1
                                        ;     Parent Loop BB6_22 Depth=2
                                        ;       Parent Loop BB6_27 Depth=3
                                        ; =>      This Inner Loop Header: Depth=4
	v_mov_b32_e32 v14, v32
	s_andn2_b32 vcc_lo, exec_lo, s23
	s_cbranch_vccnz .LBB6_38
; %bb.37:                               ;   in Loop: Header=BB6_36 Depth=4
	v_add_nc_u32_e32 v14, v33, v25
	v_mad_u64_u32 v[14:15], null, v14, s18, v[5:6]
.LBB6_38:                               ;   in Loop: Header=BB6_36 Depth=4
	v_ashrrev_i32_e32 v15, 31, v14
	v_add_nc_u32_e32 v35, v33, v22
	v_lshlrev_b64 v[14:15], 2, v[14:15]
	v_add_co_u32 v14, vcc_lo, s12, v14
	v_add_co_ci_u32_e64 v15, null, s13, v15, vcc_lo
	s_andn2_b32 vcc_lo, exec_lo, s23
	global_load_dword v34, v[14:15], off
	v_mov_b32_e32 v14, v31
	s_cbranch_vccnz .LBB6_40
; %bb.39:                               ;   in Loop: Header=BB6_36 Depth=4
	v_mad_u64_u32 v[14:15], null, v35, s18, v[9:10]
.LBB6_40:                               ;   in Loop: Header=BB6_36 Depth=4
	v_ashrrev_i32_e32 v15, 31, v14
	v_lshlrev_b64 v[14:15], 2, v[14:15]
	v_add_co_u32 v14, vcc_lo, s12, v14
	v_add_co_ci_u32_e64 v15, null, s13, v15, vcc_lo
	s_andn2_b32 vcc_lo, exec_lo, s23
	global_load_dword v36, v[14:15], off
	v_mov_b32_e32 v14, v31
	s_cbranch_vccnz .LBB6_35
; %bb.41:                               ;   in Loop: Header=BB6_36 Depth=4
	v_mad_u64_u32 v[14:15], null, v35, s18, v[9:10]
	s_branch .LBB6_35
.LBB6_42:                               ;   in Loop: Header=BB6_27 Depth=3
                                        ; implicit-def: $vgpr15
	v_add_nc_u32_e32 v31, v9, v22
	s_branch .LBB6_29
.LBB6_43:                               ;   in Loop: Header=BB6_27 Depth=3
                                        ; implicit-def: $vgpr14
	s_branch .LBB6_32
.LBB6_44:                               ;   in Loop: Header=BB6_14 Depth=1
	s_or_b32 exec_lo, exec_lo, s38
.LBB6_45:                               ;   in Loop: Header=BB6_14 Depth=1
	v_subrev_nc_u32_e32 v9, s24, v24
	v_add_nc_u32_e32 v13, 1, v23
	s_mov_b32 s4, exec_lo
	v_cmpx_lt_i32_e64 v13, v9
	s_cbranch_execz .LBB6_12
; %bb.46:                               ;   in Loop: Header=BB6_14 Depth=1
	v_mul_lo_u32 v16, s29, v13
	s_mov_b32 s38, 0
	s_branch .LBB6_49
.LBB6_47:                               ;   in Loop: Header=BB6_49 Depth=2
	s_or_b32 exec_lo, exec_lo, s39
.LBB6_48:                               ;   in Loop: Header=BB6_49 Depth=2
	v_add_nc_u32_e32 v13, 1, v13
	v_add_nc_u32_e32 v16, s29, v16
	v_cmp_ge_i32_e32 vcc_lo, v13, v9
	s_or_b32 s38, vcc_lo, s38
	s_andn2_b32 exec_lo, exec_lo, s38
	s_cbranch_execz .LBB6_12
.LBB6_49:                               ;   Parent Loop BB6_14 Depth=1
                                        ; =>  This Loop Header: Depth=2
                                        ;       Child Loop BB6_54 Depth 3
                                        ;       Child Loop BB6_61 Depth 3
                                        ;         Child Loop BB6_63 Depth 4
                                        ;           Child Loop BB6_65 Depth 5
	v_ashrrev_i32_e32 v14, 31, v13
	v_lshlrev_b64 v[14:15], 2, v[13:14]
	v_add_co_u32 v14, vcc_lo, s10, v14
	v_add_co_ci_u32_e64 v15, null, s11, v15, vcc_lo
	s_waitcnt lgkmcnt(0)
	global_load_dword v5, v[14:15], off
	v_mov_b32_e32 v15, s27
	s_and_saveexec_b32 s39, s2
	s_cbranch_execz .LBB6_51
; %bb.50:                               ;   in Loop: Header=BB6_49 Depth=2
	global_load_dword v14, v[11:12], off
	s_waitcnt vmcnt(0)
	v_subrev_nc_u32_e32 v15, s24, v14
.LBB6_51:                               ;   in Loop: Header=BB6_49 Depth=2
	s_or_b32 exec_lo, exec_lo, s39
	s_waitcnt vmcnt(0)
	v_subrev_nc_u32_e32 v5, s24, v5
	v_mov_b32_e32 v23, v10
	s_mov_b32 s39, exec_lo
	v_cmpx_lt_i32_e64 v15, v5
	s_cbranch_execz .LBB6_57
; %bb.52:                               ;   in Loop: Header=BB6_49 Depth=2
	v_mov_b32_e32 v14, v10
	s_mov_b32 s40, 0
	s_branch .LBB6_54
	.p2align	6
.LBB6_53:                               ;   in Loop: Header=BB6_54 Depth=3
	s_or_b32 exec_lo, exec_lo, s41
	v_cmp_ge_i32_e32 vcc_lo, v15, v5
	v_mov_b32_e32 v14, v23
	s_or_b32 s40, vcc_lo, s40
	s_andn2_b32 exec_lo, exec_lo, s40
	s_cbranch_execz .LBB6_56
.LBB6_54:                               ;   Parent Loop BB6_14 Depth=1
                                        ;     Parent Loop BB6_49 Depth=2
                                        ; =>    This Inner Loop Header: Depth=3
	v_add_nc_u32_e32 v23, 64, v14
	v_mov_b32_e32 v15, s27
	s_mov_b32 s41, exec_lo
	v_cmpx_lt_i32_e64 v23, v17
	s_cbranch_execz .LBB6_53
; %bb.55:                               ;   in Loop: Header=BB6_54 Depth=3
	v_ashrrev_i32_e32 v15, 31, v14
	v_lshlrev_b64 v[14:15], 2, v[14:15]
	v_add_co_u32 v14, vcc_lo, s10, v14
	v_add_co_ci_u32_e64 v15, null, s11, v15, vcc_lo
	global_load_dword v14, v[14:15], off offset:256
	s_waitcnt vmcnt(0)
	v_subrev_nc_u32_e32 v15, s24, v14
	s_branch .LBB6_53
.LBB6_56:                               ;   in Loop: Header=BB6_49 Depth=2
	s_or_b32 exec_lo, exec_lo, s40
.LBB6_57:                               ;   in Loop: Header=BB6_49 Depth=2
	s_or_b32 exec_lo, exec_lo, s39
	v_cmp_eq_u32_e32 vcc_lo, v15, v5
	s_cbranch_vccz .LBB6_48
; %bb.58:                               ;   in Loop: Header=BB6_49 Depth=2
	s_ff1_i32_b32 s39, vcc_lo
	s_lshl_b32 s39, s39, 2
	v_mov_b32_e32 v5, s39
	ds_bpermute_b32 v5, v5, v23
	s_and_saveexec_b32 s39, s0
	s_cbranch_execz .LBB6_47
; %bb.59:                               ;   in Loop: Header=BB6_49 Depth=2
	v_mul_lo_u32 v23, v13, s18
	s_waitcnt lgkmcnt(0)
	v_mul_lo_u32 v24, v5, s18
	v_mov_b32_e32 v25, v20
	v_mov_b32_e32 v5, v0
	s_mov_b32 s40, 0
	s_branch .LBB6_61
.LBB6_60:                               ;   in Loop: Header=BB6_61 Depth=3
	v_add_nc_u32_e32 v5, 64, v5
	v_add_nc_u32_e32 v25, s31, v25
	v_cmp_le_i32_e32 vcc_lo, s18, v5
	s_or_b32 s40, vcc_lo, s40
	s_andn2_b32 exec_lo, exec_lo, s40
	s_cbranch_execz .LBB6_47
.LBB6_61:                               ;   Parent Loop BB6_14 Depth=1
                                        ;     Parent Loop BB6_49 Depth=2
                                        ; =>    This Loop Header: Depth=3
                                        ;         Child Loop BB6_63 Depth 4
                                        ;           Child Loop BB6_65 Depth 5
	v_add_nc_u32_e32 v14, v5, v24
	v_mov_b32_e32 v27, v16
	s_mov_b32 s41, 0
	v_mul_lo_u32 v26, v14, s18
	s_branch .LBB6_63
.LBB6_62:                               ;   in Loop: Header=BB6_63 Depth=4
	v_ashrrev_i32_e32 v15, 31, v14
	v_add_nc_u32_e32 v27, 1, v27
	s_add_i32 s41, s41, 1
	s_cmp_eq_u32 s41, s18
	v_lshlrev_b64 v[14:15], 2, v[14:15]
	v_add_co_u32 v14, vcc_lo, s12, v14
	v_add_co_ci_u32_e64 v15, null, s13, v15, vcc_lo
	global_load_dword v29, v[14:15], off
	s_waitcnt vmcnt(0)
	v_sub_f32_e32 v28, v29, v28
	global_store_dword v[14:15], v28, off
	s_cbranch_scc1 .LBB6_60
.LBB6_63:                               ;   Parent Loop BB6_14 Depth=1
                                        ;     Parent Loop BB6_49 Depth=2
                                        ;       Parent Loop BB6_61 Depth=3
                                        ; =>      This Loop Header: Depth=4
                                        ;           Child Loop BB6_65 Depth 5
	v_add_nc_u32_e32 v14, s41, v23
	v_mov_b32_e32 v28, 0
	v_mov_b32_e32 v30, v27
	s_mov_b32 s42, 0
	v_mul_lo_u32 v29, v14, s18
	s_inst_prefetch 0x1
	s_branch .LBB6_65
	.p2align	6
.LBB6_64:                               ;   in Loop: Header=BB6_65 Depth=5
	v_ashrrev_i32_e32 v15, 31, v14
	v_add_nc_u32_e32 v30, s18, v30
	s_add_i32 s42, s42, 1
	s_cmp_eq_u32 s18, s42
	v_lshlrev_b64 v[14:15], 2, v[14:15]
	v_add_co_u32 v14, vcc_lo, s12, v14
	v_add_co_ci_u32_e64 v15, null, s13, v15, vcc_lo
	global_load_dword v14, v[14:15], off
	s_waitcnt vmcnt(0)
	v_fmac_f32_e32 v28, v31, v14
	s_cbranch_scc1 .LBB6_71
.LBB6_65:                               ;   Parent Loop BB6_14 Depth=1
                                        ;     Parent Loop BB6_49 Depth=2
                                        ;       Parent Loop BB6_61 Depth=3
                                        ;         Parent Loop BB6_63 Depth=4
                                        ; =>        This Inner Loop Header: Depth=5
	s_and_b32 vcc_lo, exec_lo, s23
	s_cbranch_vccz .LBB6_70
; %bb.66:                               ;   in Loop: Header=BB6_65 Depth=5
	v_add_nc_u32_e32 v14, s42, v22
	v_mad_u64_u32 v[14:15], null, v14, s18, v[5:6]
	s_cbranch_execnz .LBB6_68
.LBB6_67:                               ;   in Loop: Header=BB6_65 Depth=5
	v_add_nc_u32_e32 v14, s42, v25
.LBB6_68:                               ;   in Loop: Header=BB6_65 Depth=5
	v_ashrrev_i32_e32 v15, 31, v14
	v_lshlrev_b64 v[14:15], 2, v[14:15]
	v_add_co_u32 v14, vcc_lo, s12, v14
	v_add_co_ci_u32_e64 v15, null, s13, v15, vcc_lo
	s_andn2_b32 vcc_lo, exec_lo, s23
	global_load_dword v31, v[14:15], off
	v_mov_b32_e32 v14, v30
	s_cbranch_vccnz .LBB6_64
; %bb.69:                               ;   in Loop: Header=BB6_65 Depth=5
	v_add_nc_u32_e32 v14, s42, v29
	s_branch .LBB6_64
.LBB6_70:                               ;   in Loop: Header=BB6_65 Depth=5
                                        ; implicit-def: $vgpr14
	s_branch .LBB6_67
.LBB6_71:                               ;   in Loop: Header=BB6_63 Depth=4
	s_inst_prefetch 0x2
	s_and_b32 vcc_lo, exec_lo, s23
	s_cbranch_vccz .LBB6_73
; %bb.72:                               ;   in Loop: Header=BB6_63 Depth=4
	v_add_nc_u32_e32 v14, s41, v24
	v_mad_u64_u32 v[14:15], null, v14, s18, v[5:6]
	s_cbranch_execnz .LBB6_62
	s_branch .LBB6_74
.LBB6_73:                               ;   in Loop: Header=BB6_63 Depth=4
                                        ; implicit-def: $vgpr14
.LBB6_74:                               ;   in Loop: Header=BB6_63 Depth=4
	v_add_nc_u32_e32 v14, s41, v26
	s_branch .LBB6_62
.LBB6_75:
	s_or_b32 exec_lo, exec_lo, s34
	s_and_b32 s3, s35, exec_lo
.LBB6_76:
	s_or_b32 exec_lo, exec_lo, s5
	s_waitcnt lgkmcnt(0)
	v_ashrrev_i32_e32 v5, 31, v4
	s_cmp_gt_i32 s18, 0
	s_mov_b32 s8, 0
	s_cselect_b32 s4, -1, 0
	v_lshlrev_b64 v[8:9], 2, v[4:5]
	v_add_co_u32 v8, vcc_lo, s10, v8
	v_add_co_ci_u32_e64 v9, null, s11, v9, vcc_lo
	global_load_dword v5, v[8:9], off
	s_waitcnt vmcnt(0)
	v_subrev_nc_u32_e32 v5, s24, v5
	v_cmp_eq_u32_e32 vcc_lo, v5, v1
	s_and_b32 s0, s4, vcc_lo
	s_and_saveexec_b32 s5, s0
	s_cbranch_execz .LBB6_110
; %bb.77:
	v_cvt_f64_f32_e32 v[11:12], v19
	v_mul_lo_u32 v14, v4, s18
	s_cmp_eq_u64 s[16:17], 8
	s_mul_i32 s1, s18, s18
	s_cselect_b32 vcc_lo, -1, 0
	s_cmp_lg_u32 s26, 0
	v_mad_u64_u32 v[8:9], null, v4, s1, 1
	s_cselect_b32 s9, -1, 0
	v_add_nc_u32_e32 v10, v14, v0
	s_add_i32 s2, s18, 1
	v_cmp_eq_u32_e64 s0, 0, v0
	v_mov_b32_e32 v5, 0
	s_lshl_b32 s10, s18, 6
	v_mad_u64_u32 v[9:10], null, s18, v10, s[2:3]
	s_add_i32 s11, s18, -1
	s_mov_b32 s15, s3
                                        ; implicit-def: $sgpr14
	v_cndmask_b32_e32 v7, v12, v7, vcc_lo
	v_cndmask_b32_e32 v6, v11, v6, vcc_lo
	s_branch .LBB6_79
.LBB6_78:                               ;   in Loop: Header=BB6_79 Depth=1
	s_or_b32 exec_lo, exec_lo, s1
	v_cmp_eq_u32_e32 vcc_lo, s18, v19
	s_add_i32 s11, s11, -1
	v_add_nc_u32_e32 v8, s2, v8
	v_add_nc_u32_e32 v9, s2, v9
	v_mov_b32_e32 v5, v19
	s_or_b32 s8, vcc_lo, s8
	s_andn2_b32 s1, s14, exec_lo
	s_and_b32 s14, s15, exec_lo
	s_or_b32 s14, s1, s14
	s_andn2_b32 exec_lo, exec_lo, s8
	s_cbranch_execz .LBB6_109
.LBB6_79:                               ; =>This Loop Header: Depth=1
                                        ;     Child Loop BB6_89 Depth 2
                                        ;       Child Loop BB6_98 Depth 3
	v_add_nc_u32_e32 v10, v5, v14
	s_mov_b32 s16, 0
	s_mov_b32 s1, 0
	s_mov_b32 s17, -1
                                        ; implicit-def: $vgpr12
	v_mul_lo_u32 v15, v10, s18
	v_add_nc_u32_e32 v10, v15, v5
	v_ashrrev_i32_e32 v11, 31, v10
	v_lshlrev_b64 v[10:11], 2, v[10:11]
	v_add_co_u32 v10, vcc_lo, s12, v10
	v_add_co_ci_u32_e64 v11, null, s13, v11, vcc_lo
	s_andn2_b32 vcc_lo, exec_lo, s25
	global_load_dword v16, v[10:11], off
	s_cbranch_vccnz .LBB6_83
; %bb.80:                               ;   in Loop: Header=BB6_79 Depth=1
	s_waitcnt vmcnt(0)
	v_cmp_gt_f32_e32 vcc_lo, 0, v16
	v_cndmask_b32_e64 v12, v16, -v16, vcc_lo
	v_cvt_f64_f32_e32 v[12:13], v12
	v_cmp_ge_f64_e32 vcc_lo, v[6:7], v[12:13]
	v_cndmask_b32_e32 v12, v16, v18, vcc_lo
	s_and_saveexec_b32 s1, s0
	s_cbranch_execz .LBB6_82
; %bb.81:                               ;   in Loop: Header=BB6_79 Depth=1
	global_store_dword v[10:11], v12, off
.LBB6_82:                               ;   in Loop: Header=BB6_79 Depth=1
	s_or_b32 exec_lo, exec_lo, s1
	s_mov_b32 s17, 0
	s_mov_b32 s1, -1
.LBB6_83:                               ;   in Loop: Header=BB6_79 Depth=1
	s_andn2_b32 vcc_lo, exec_lo, s17
	s_cbranch_vccnz .LBB6_85
; %bb.84:                               ;   in Loop: Header=BB6_79 Depth=1
	s_waitcnt vmcnt(0)
	v_cmp_neq_f32_e32 vcc_lo, 0, v16
	s_andn2_b32 s1, s1, exec_lo
	s_mov_b32 s16, -1
	s_and_b32 s17, vcc_lo, exec_lo
	s_or_b32 s1, s1, s17
                                        ; implicit-def: $vgpr19
	s_and_saveexec_b32 s17, s1
	s_xor_b32 s17, exec_lo, s17
	s_cbranch_execnz .LBB6_86
	s_branch .LBB6_107
.LBB6_85:                               ;   in Loop: Header=BB6_79 Depth=1
	s_waitcnt vmcnt(0)
	v_mov_b32_e32 v16, v12
                                        ; implicit-def: $vgpr19
	s_and_saveexec_b32 s17, s1
	s_xor_b32 s17, exec_lo, s17
	s_cbranch_execz .LBB6_107
.LBB6_86:                               ;   in Loop: Header=BB6_79 Depth=1
	v_add_nc_u32_e32 v19, 1, v5
	s_mov_b32 s22, exec_lo
	v_add_nc_u32_e32 v10, v19, v0
	v_cmpx_gt_i32_e64 s18, v10
	s_cbranch_execz .LBB6_106
; %bb.87:                               ;   in Loop: Header=BB6_79 Depth=1
	v_cmp_gt_i32_e64 s1, s18, v19
	v_mov_b32_e32 v20, v9
	s_mov_b32 s23, 0
	s_branch .LBB6_89
.LBB6_88:                               ;   in Loop: Header=BB6_89 Depth=2
	s_or_b32 exec_lo, exec_lo, s27
	v_add_nc_u32_e32 v10, 64, v10
	v_add_nc_u32_e32 v20, s10, v20
	v_cmp_le_i32_e32 vcc_lo, s18, v10
	s_or_b32 s23, vcc_lo, s23
	s_andn2_b32 exec_lo, exec_lo, s23
	s_cbranch_execz .LBB6_106
.LBB6_89:                               ;   Parent Loop BB6_79 Depth=1
                                        ; =>  This Loop Header: Depth=2
                                        ;       Child Loop BB6_98 Depth 3
	v_add_nc_u32_e32 v11, v10, v15
	s_and_b32 vcc_lo, exec_lo, s9
	s_cbranch_vccz .LBB6_104
; %bb.90:                               ;   in Loop: Header=BB6_89 Depth=2
	v_add_nc_u32_e32 v12, v10, v15
	s_cbranch_execnz .LBB6_92
.LBB6_91:                               ;   in Loop: Header=BB6_89 Depth=2
	v_add_nc_u32_e32 v12, v10, v14
	v_mad_u64_u32 v[12:13], null, v12, s18, v[5:6]
.LBB6_92:                               ;   in Loop: Header=BB6_89 Depth=2
	v_ashrrev_i32_e32 v13, 31, v12
	v_lshlrev_b64 v[12:13], 2, v[12:13]
	v_add_co_u32 v12, vcc_lo, s12, v12
	v_add_co_ci_u32_e64 v13, null, s13, v13, vcc_lo
	s_and_b32 vcc_lo, exec_lo, s9
	global_load_dword v13, v[12:13], off
	s_cbranch_vccz .LBB6_105
; %bb.93:                               ;   in Loop: Header=BB6_89 Depth=2
	s_cbranch_execnz .LBB6_95
.LBB6_94:                               ;   in Loop: Header=BB6_89 Depth=2
	v_add_nc_u32_e32 v11, v10, v14
	v_mad_u64_u32 v[11:12], null, v11, s18, v[5:6]
.LBB6_95:                               ;   in Loop: Header=BB6_89 Depth=2
	s_waitcnt vmcnt(0)
	v_div_scale_f32 v12, null, v16, v16, v13
	v_div_scale_f32 v23, vcc_lo, v13, v16, v13
	v_rcp_f32_e32 v21, v12
	v_fma_f32 v22, -v12, v21, 1.0
	v_fmac_f32_e32 v21, v22, v21
	v_mul_f32_e32 v22, v23, v21
	v_fma_f32 v24, -v12, v22, v23
	v_fmac_f32_e32 v22, v24, v21
	v_fma_f32 v23, -v12, v22, v23
	v_ashrrev_i32_e32 v12, 31, v11
	v_div_fmas_f32 v21, v23, v21, v22
	v_lshlrev_b64 v[11:12], 2, v[11:12]
	v_div_fixup_f32 v13, v21, v16, v13
	v_add_co_u32 v11, vcc_lo, s12, v11
	v_add_co_ci_u32_e64 v12, null, s13, v12, vcc_lo
	global_store_dword v[11:12], v13, off
	s_and_saveexec_b32 s27, s1
	s_cbranch_execz .LBB6_88
; %bb.96:                               ;   in Loop: Header=BB6_89 Depth=2
	v_mov_b32_e32 v21, v20
	v_mov_b32_e32 v22, v8
	;; [unrolled: 1-line block ×3, first 2 shown]
	s_mov_b32 s28, s11
	s_branch .LBB6_98
.LBB6_97:                               ;   in Loop: Header=BB6_98 Depth=3
	v_ashrrev_i32_e32 v12, 31, v11
	s_waitcnt vmcnt(0)
	v_fma_f32 v24, -v13, v25, v26
	v_add_nc_u32_e32 v23, 1, v23
	v_add_nc_u32_e32 v22, 1, v22
	;; [unrolled: 1-line block ×3, first 2 shown]
	v_lshlrev_b64 v[11:12], 2, v[11:12]
	s_add_i32 s28, s28, -1
	s_cmp_eq_u32 s28, 0
	v_add_co_u32 v11, vcc_lo, s12, v11
	v_add_co_ci_u32_e64 v12, null, s13, v12, vcc_lo
	global_store_dword v[11:12], v24, off
	s_cbranch_scc1 .LBB6_88
.LBB6_98:                               ;   Parent Loop BB6_79 Depth=1
                                        ;     Parent Loop BB6_89 Depth=2
                                        ; =>    This Inner Loop Header: Depth=3
	v_add_nc_u32_e32 v24, v23, v14
	v_mov_b32_e32 v11, v22
	s_andn2_b32 vcc_lo, exec_lo, s9
	s_cbranch_vccnz .LBB6_100
; %bb.99:                               ;   in Loop: Header=BB6_98 Depth=3
	v_mad_u64_u32 v[11:12], null, v24, s18, v[5:6]
.LBB6_100:                              ;   in Loop: Header=BB6_98 Depth=3
	v_ashrrev_i32_e32 v12, 31, v11
	v_lshlrev_b64 v[11:12], 2, v[11:12]
	v_add_co_u32 v11, vcc_lo, s12, v11
	v_add_co_ci_u32_e64 v12, null, s13, v12, vcc_lo
	s_andn2_b32 vcc_lo, exec_lo, s9
	global_load_dword v25, v[11:12], off
	v_mov_b32_e32 v11, v21
	s_cbranch_vccnz .LBB6_102
; %bb.101:                              ;   in Loop: Header=BB6_98 Depth=3
	v_mad_u64_u32 v[11:12], null, v24, s18, v[10:11]
.LBB6_102:                              ;   in Loop: Header=BB6_98 Depth=3
	v_ashrrev_i32_e32 v12, 31, v11
	v_lshlrev_b64 v[11:12], 2, v[11:12]
	v_add_co_u32 v11, vcc_lo, s12, v11
	v_add_co_ci_u32_e64 v12, null, s13, v12, vcc_lo
	s_andn2_b32 vcc_lo, exec_lo, s9
	global_load_dword v26, v[11:12], off
	v_mov_b32_e32 v11, v21
	s_cbranch_vccnz .LBB6_97
; %bb.103:                              ;   in Loop: Header=BB6_98 Depth=3
	v_mad_u64_u32 v[11:12], null, v24, s18, v[10:11]
	s_branch .LBB6_97
.LBB6_104:                              ;   in Loop: Header=BB6_89 Depth=2
                                        ; implicit-def: $vgpr12
	s_branch .LBB6_91
.LBB6_105:                              ;   in Loop: Header=BB6_89 Depth=2
                                        ; implicit-def: $vgpr11
	s_branch .LBB6_94
.LBB6_106:                              ;   in Loop: Header=BB6_79 Depth=1
	s_or_b32 exec_lo, exec_lo, s22
	s_andn2_b32 s16, s16, exec_lo
.LBB6_107:                              ;   in Loop: Header=BB6_79 Depth=1
	s_or_b32 exec_lo, exec_lo, s17
	s_andn2_b32 s1, s15, exec_lo
	s_and_b32 s15, s15, exec_lo
	s_or_b32 s15, s1, s15
	s_and_saveexec_b32 s1, s16
	s_cbranch_execz .LBB6_78
; %bb.108:                              ;   in Loop: Header=BB6_79 Depth=1
	v_add_nc_u32_e32 v19, 1, v5
	s_or_b32 s15, s15, exec_lo
	s_branch .LBB6_78
.LBB6_109:
	s_or_b32 exec_lo, exec_lo, s8
	s_andn2_b32 s0, s3, exec_lo
	s_and_b32 s1, s14, exec_lo
	s_or_b32 s3, s0, s1
.LBB6_110:
	s_or_b32 exec_lo, exec_lo, s5
	v_add_nc_u32_e32 v9, 1, v4
	s_mov_b32 s1, exec_lo
	v_cmpx_lt_i32_e64 v9, v17
	s_cbranch_execz .LBB6_134
; %bb.111:
	v_mul_lo_u32 v10, v4, s18
	s_mul_i32 s2, s18, s18
	v_cmp_gt_i32_e64 s0, s18, v0
	v_mul_lo_u32 v6, s2, v9
	s_cmp_lg_u32 s26, 0
	s_mov_b32 s5, 0
	s_cselect_b32 s8, -1, 0
	s_add_i32 s9, s18, 1
	v_mad_u64_u32 v[4:5], null, s18, v10, s[18:19]
	s_add_i32 s10, s18, -1
	v_add3_u32 v11, v6, s18, v0
	s_branch .LBB6_113
.LBB6_112:                              ;   in Loop: Header=BB6_113 Depth=1
	v_add_nc_u32_e32 v9, 1, v9
	v_add_nc_u32_e32 v11, s2, v11
	v_cmp_ge_i32_e32 vcc_lo, v9, v17
	s_or_b32 s5, vcc_lo, s5
	s_andn2_b32 exec_lo, exec_lo, s5
	s_cbranch_execz .LBB6_134
.LBB6_113:                              ; =>This Loop Header: Depth=1
                                        ;     Child Loop BB6_116 Depth 2
                                        ;       Child Loop BB6_119 Depth 3
                                        ;         Child Loop BB6_122 Depth 4
	s_andn2_b32 vcc_lo, exec_lo, s4
	s_cbranch_vccnz .LBB6_112
; %bb.114:                              ;   in Loop: Header=BB6_113 Depth=1
	v_mul_lo_u32 v12, v9, s18
	v_mov_b32_e32 v13, v11
	v_mov_b32_e32 v14, v4
	s_mov_b32 s14, 0
	s_mov_b32 s11, s10
	s_branch .LBB6_116
.LBB6_115:                              ;   in Loop: Header=BB6_116 Depth=2
	s_or_b32 exec_lo, exec_lo, s16
	v_add_nc_u32_e32 v14, s9, v14
	v_add_nc_u32_e32 v13, s18, v13
	s_add_i32 s11, s11, -1
	s_cmp_eq_u32 s15, s18
	s_mov_b32 s14, s15
	s_cbranch_scc1 .LBB6_112
.LBB6_116:                              ;   Parent Loop BB6_113 Depth=1
                                        ; =>  This Loop Header: Depth=2
                                        ;       Child Loop BB6_119 Depth 3
                                        ;         Child Loop BB6_122 Depth 4
	s_add_i32 s15, s14, 1
	s_and_saveexec_b32 s16, s0
	s_cbranch_execz .LBB6_115
; %bb.117:                              ;   in Loop: Header=BB6_116 Depth=2
	v_add_nc_u32_e32 v5, s14, v10
	v_add_nc_u32_e32 v6, s14, v12
	v_mov_b32_e32 v18, v13
	v_mov_b32_e32 v19, v0
	s_cmp_lt_i32 s15, s18
	v_mul_lo_u32 v15, v5, s18
	v_mul_lo_u32 v16, v6, s18
	s_cselect_b32 s17, -1, 0
	s_mov_b32 s22, 0
	s_branch .LBB6_119
.LBB6_118:                              ;   in Loop: Header=BB6_119 Depth=3
	v_add_nc_u32_e32 v19, 64, v19
	v_add_nc_u32_e32 v18, 64, v18
	v_cmp_le_i32_e32 vcc_lo, s18, v19
	s_or_b32 s22, vcc_lo, s22
	s_andn2_b32 exec_lo, exec_lo, s22
	s_cbranch_execz .LBB6_115
.LBB6_119:                              ;   Parent Loop BB6_113 Depth=1
                                        ;     Parent Loop BB6_116 Depth=2
                                        ; =>    This Loop Header: Depth=3
                                        ;         Child Loop BB6_122 Depth 4
	s_andn2_b32 vcc_lo, exec_lo, s17
	s_cbranch_vccnz .LBB6_118
; %bb.120:                              ;   in Loop: Header=BB6_119 Depth=3
	v_add_nc_u32_e32 v5, v19, v12
	v_add_nc_u32_e32 v22, v19, v16
	s_mov_b32 s23, 0
	s_mov_b32 s25, s11
	;; [unrolled: 1-line block ×3, first 2 shown]
	v_mul_lo_u32 v20, v5, s18
	v_add_nc_u32_e32 v21, s14, v20
	s_branch .LBB6_122
.LBB6_121:                              ;   in Loop: Header=BB6_122 Depth=4
	v_ashrrev_i32_e32 v6, 31, v5
	s_waitcnt vmcnt(0)
	v_fma_f32 v7, -v8, v23, v7
	s_add_i32 s25, s25, -1
	s_add_i32 s26, s26, 1
	s_add_i32 s23, s23, s18
	v_lshlrev_b64 v[5:6], 2, v[5:6]
	s_cmp_eq_u32 s25, 0
	v_add_co_u32 v5, vcc_lo, s12, v5
	v_add_co_ci_u32_e64 v6, null, s13, v6, vcc_lo
	global_store_dword v[5:6], v7, off
	s_cbranch_scc1 .LBB6_118
.LBB6_122:                              ;   Parent Loop BB6_113 Depth=1
                                        ;     Parent Loop BB6_116 Depth=2
                                        ;       Parent Loop BB6_119 Depth=3
                                        ; =>      This Inner Loop Header: Depth=4
	s_and_b32 vcc_lo, exec_lo, s8
	s_cbranch_vccz .LBB6_130
; %bb.123:                              ;   in Loop: Header=BB6_122 Depth=4
	v_add_nc_u32_e32 v5, s26, v15
	v_mov_b32_e32 v7, v21
	s_cbranch_execnz .LBB6_125
.LBB6_124:                              ;   in Loop: Header=BB6_122 Depth=4
	v_add_nc_u32_e32 v5, s23, v14
	v_mov_b32_e32 v7, v22
.LBB6_125:                              ;   in Loop: Header=BB6_122 Depth=4
	v_ashrrev_i32_e32 v6, 31, v5
	v_ashrrev_i32_e32 v8, 31, v7
	v_lshlrev_b64 v[5:6], 2, v[5:6]
	v_lshlrev_b64 v[7:8], 2, v[7:8]
	v_add_co_u32 v5, vcc_lo, s12, v5
	v_add_co_ci_u32_e64 v6, null, s13, v6, vcc_lo
	v_add_co_u32 v23, vcc_lo, s12, v7
	v_add_co_ci_u32_e64 v24, null, s13, v8, vcc_lo
	s_clause 0x1
	global_load_dword v8, v[5:6], off
	global_load_dword v23, v[23:24], off
	v_add_nc_u32_e32 v5, s26, v20
	s_and_b32 vcc_lo, exec_lo, s8
	s_cbranch_vccz .LBB6_131
; %bb.126:                              ;   in Loop: Header=BB6_122 Depth=4
	v_add_nc_u32_e32 v6, s26, v20
	v_add_nc_u32_e32 v24, s23, v18
	s_cbranch_execnz .LBB6_128
.LBB6_127:                              ;   in Loop: Header=BB6_122 Depth=4
	v_add_nc_u32_e32 v6, s23, v18
.LBB6_128:                              ;   in Loop: Header=BB6_122 Depth=4
	v_ashrrev_i32_e32 v7, 31, v6
	v_lshlrev_b64 v[6:7], 2, v[6:7]
	v_add_co_u32 v6, vcc_lo, s12, v6
	v_add_co_ci_u32_e64 v7, null, s13, v7, vcc_lo
	s_and_b32 vcc_lo, exec_lo, s8
	global_load_dword v7, v[6:7], off
	s_cbranch_vccz .LBB6_132
; %bb.129:                              ;   in Loop: Header=BB6_122 Depth=4
	s_cbranch_execnz .LBB6_121
	s_branch .LBB6_133
.LBB6_130:                              ;   in Loop: Header=BB6_122 Depth=4
                                        ; implicit-def: $vgpr5
	v_mov_b32_e32 v7, v21
	s_branch .LBB6_124
.LBB6_131:                              ;   in Loop: Header=BB6_122 Depth=4
                                        ; implicit-def: $vgpr6
	v_add_nc_u32_e32 v24, s23, v18
	s_branch .LBB6_127
.LBB6_132:                              ;   in Loop: Header=BB6_122 Depth=4
                                        ; implicit-def: $vgpr5
.LBB6_133:                              ;   in Loop: Header=BB6_122 Depth=4
	v_mov_b32_e32 v5, v24
	s_branch .LBB6_121
.LBB6_134:
	s_or_b32 exec_lo, exec_lo, s1
	s_orn2_b32 s0, s3, exec_lo
.LBB6_135:
	s_or_b32 exec_lo, exec_lo, s19
	v_cmp_eq_u32_e32 vcc_lo, 0, v0
	s_and_b32 exec_lo, exec_lo, vcc_lo
	s_cbranch_execz .LBB6_141
; %bb.136:
	v_add_co_u32 v2, vcc_lo, s20, v2
	v_add_co_ci_u32_e64 v3, null, s21, v3, vcc_lo
	v_mov_b32_e32 v0, 1
	s_waitcnt_vscnt null, 0x0
	global_store_dword v[2:3], v0, off
	s_and_b32 exec_lo, exec_lo, s0
	s_cbranch_execz .LBB6_141
; %bb.137:
	v_add_nc_u32_e32 v0, s24, v1
	s_mov_b32 s1, exec_lo
	s_brev_b32 s0, -2
.LBB6_138:                              ; =>This Inner Loop Header: Depth=1
	s_ff1_i32_b32 s2, s1
	v_readlane_b32 s3, v0, s2
	s_lshl_b32 s2, 1, s2
	s_andn2_b32 s1, s1, s2
	s_min_i32 s0, s0, s3
	s_cmp_lg_u32 s1, 0
	s_cbranch_scc1 .LBB6_138
; %bb.139:
	v_mbcnt_lo_u32_b32 v0, exec_lo, 0
	s_mov_b32 s1, exec_lo
	v_cmpx_eq_u32_e32 0, v0
	s_xor_b32 s1, exec_lo, s1
	s_cbranch_execz .LBB6_141
; %bb.140:
	v_mov_b32_e32 v0, 0
	v_mov_b32_e32 v1, s0
	global_atomic_smin v0, v1, s[6:7]
.LBB6_141:
	s_endpgm
	.section	.rodata,"a",@progbits
	.p2align	6, 0x0
	.amdhsa_kernel _ZN9rocsparseL15bsrilu0_generalILj128ELj64ELb0EfEEv20rocsparse_direction_iPKiS3_PT2_S3_iPiS3_S6_21rocsparse_index_base_imNS_24const_host_device_scalarIfEENS8_IdEENS8_IS4_EEb
		.amdhsa_group_segment_fixed_size 0
		.amdhsa_private_segment_fixed_size 0
		.amdhsa_kernarg_size 116
		.amdhsa_user_sgpr_count 6
		.amdhsa_user_sgpr_private_segment_buffer 1
		.amdhsa_user_sgpr_dispatch_ptr 0
		.amdhsa_user_sgpr_queue_ptr 0
		.amdhsa_user_sgpr_kernarg_segment_ptr 1
		.amdhsa_user_sgpr_dispatch_id 0
		.amdhsa_user_sgpr_flat_scratch_init 0
		.amdhsa_user_sgpr_private_segment_size 0
		.amdhsa_wavefront_size32 1
		.amdhsa_uses_dynamic_stack 0
		.amdhsa_system_sgpr_private_segment_wavefront_offset 0
		.amdhsa_system_sgpr_workgroup_id_x 1
		.amdhsa_system_sgpr_workgroup_id_y 0
		.amdhsa_system_sgpr_workgroup_id_z 0
		.amdhsa_system_sgpr_workgroup_info 0
		.amdhsa_system_vgpr_workitem_id 0
		.amdhsa_next_free_vgpr 37
		.amdhsa_next_free_sgpr 44
		.amdhsa_reserve_vcc 1
		.amdhsa_reserve_flat_scratch 0
		.amdhsa_float_round_mode_32 0
		.amdhsa_float_round_mode_16_64 0
		.amdhsa_float_denorm_mode_32 3
		.amdhsa_float_denorm_mode_16_64 3
		.amdhsa_dx10_clamp 1
		.amdhsa_ieee_mode 1
		.amdhsa_fp16_overflow 0
		.amdhsa_workgroup_processor_mode 1
		.amdhsa_memory_ordered 1
		.amdhsa_forward_progress 1
		.amdhsa_shared_vgpr_count 0
		.amdhsa_exception_fp_ieee_invalid_op 0
		.amdhsa_exception_fp_denorm_src 0
		.amdhsa_exception_fp_ieee_div_zero 0
		.amdhsa_exception_fp_ieee_overflow 0
		.amdhsa_exception_fp_ieee_underflow 0
		.amdhsa_exception_fp_ieee_inexact 0
		.amdhsa_exception_int_div_zero 0
	.end_amdhsa_kernel
	.section	.text._ZN9rocsparseL15bsrilu0_generalILj128ELj64ELb0EfEEv20rocsparse_direction_iPKiS3_PT2_S3_iPiS3_S6_21rocsparse_index_base_imNS_24const_host_device_scalarIfEENS8_IdEENS8_IS4_EEb,"axG",@progbits,_ZN9rocsparseL15bsrilu0_generalILj128ELj64ELb0EfEEv20rocsparse_direction_iPKiS3_PT2_S3_iPiS3_S6_21rocsparse_index_base_imNS_24const_host_device_scalarIfEENS8_IdEENS8_IS4_EEb,comdat
.Lfunc_end6:
	.size	_ZN9rocsparseL15bsrilu0_generalILj128ELj64ELb0EfEEv20rocsparse_direction_iPKiS3_PT2_S3_iPiS3_S6_21rocsparse_index_base_imNS_24const_host_device_scalarIfEENS8_IdEENS8_IS4_EEb, .Lfunc_end6-_ZN9rocsparseL15bsrilu0_generalILj128ELj64ELb0EfEEv20rocsparse_direction_iPKiS3_PT2_S3_iPiS3_S6_21rocsparse_index_base_imNS_24const_host_device_scalarIfEENS8_IdEENS8_IS4_EEb
                                        ; -- End function
	.set _ZN9rocsparseL15bsrilu0_generalILj128ELj64ELb0EfEEv20rocsparse_direction_iPKiS3_PT2_S3_iPiS3_S6_21rocsparse_index_base_imNS_24const_host_device_scalarIfEENS8_IdEENS8_IS4_EEb.num_vgpr, 37
	.set _ZN9rocsparseL15bsrilu0_generalILj128ELj64ELb0EfEEv20rocsparse_direction_iPKiS3_PT2_S3_iPiS3_S6_21rocsparse_index_base_imNS_24const_host_device_scalarIfEENS8_IdEENS8_IS4_EEb.num_agpr, 0
	.set _ZN9rocsparseL15bsrilu0_generalILj128ELj64ELb0EfEEv20rocsparse_direction_iPKiS3_PT2_S3_iPiS3_S6_21rocsparse_index_base_imNS_24const_host_device_scalarIfEENS8_IdEENS8_IS4_EEb.numbered_sgpr, 44
	.set _ZN9rocsparseL15bsrilu0_generalILj128ELj64ELb0EfEEv20rocsparse_direction_iPKiS3_PT2_S3_iPiS3_S6_21rocsparse_index_base_imNS_24const_host_device_scalarIfEENS8_IdEENS8_IS4_EEb.num_named_barrier, 0
	.set _ZN9rocsparseL15bsrilu0_generalILj128ELj64ELb0EfEEv20rocsparse_direction_iPKiS3_PT2_S3_iPiS3_S6_21rocsparse_index_base_imNS_24const_host_device_scalarIfEENS8_IdEENS8_IS4_EEb.private_seg_size, 0
	.set _ZN9rocsparseL15bsrilu0_generalILj128ELj64ELb0EfEEv20rocsparse_direction_iPKiS3_PT2_S3_iPiS3_S6_21rocsparse_index_base_imNS_24const_host_device_scalarIfEENS8_IdEENS8_IS4_EEb.uses_vcc, 1
	.set _ZN9rocsparseL15bsrilu0_generalILj128ELj64ELb0EfEEv20rocsparse_direction_iPKiS3_PT2_S3_iPiS3_S6_21rocsparse_index_base_imNS_24const_host_device_scalarIfEENS8_IdEENS8_IS4_EEb.uses_flat_scratch, 0
	.set _ZN9rocsparseL15bsrilu0_generalILj128ELj64ELb0EfEEv20rocsparse_direction_iPKiS3_PT2_S3_iPiS3_S6_21rocsparse_index_base_imNS_24const_host_device_scalarIfEENS8_IdEENS8_IS4_EEb.has_dyn_sized_stack, 0
	.set _ZN9rocsparseL15bsrilu0_generalILj128ELj64ELb0EfEEv20rocsparse_direction_iPKiS3_PT2_S3_iPiS3_S6_21rocsparse_index_base_imNS_24const_host_device_scalarIfEENS8_IdEENS8_IS4_EEb.has_recursion, 0
	.set _ZN9rocsparseL15bsrilu0_generalILj128ELj64ELb0EfEEv20rocsparse_direction_iPKiS3_PT2_S3_iPiS3_S6_21rocsparse_index_base_imNS_24const_host_device_scalarIfEENS8_IdEENS8_IS4_EEb.has_indirect_call, 0
	.section	.AMDGPU.csdata,"",@progbits
; Kernel info:
; codeLenInByte = 4044
; TotalNumSgprs: 46
; NumVgprs: 37
; ScratchSize: 0
; MemoryBound: 0
; FloatMode: 240
; IeeeMode: 1
; LDSByteSize: 0 bytes/workgroup (compile time only)
; SGPRBlocks: 0
; VGPRBlocks: 4
; NumSGPRsForWavesPerEU: 46
; NumVGPRsForWavesPerEU: 37
; Occupancy: 16
; WaveLimiterHint : 1
; COMPUTE_PGM_RSRC2:SCRATCH_EN: 0
; COMPUTE_PGM_RSRC2:USER_SGPR: 6
; COMPUTE_PGM_RSRC2:TRAP_HANDLER: 0
; COMPUTE_PGM_RSRC2:TGID_X_EN: 1
; COMPUTE_PGM_RSRC2:TGID_Y_EN: 0
; COMPUTE_PGM_RSRC2:TGID_Z_EN: 0
; COMPUTE_PGM_RSRC2:TIDIG_COMP_CNT: 0
	.section	.text._ZN9rocsparseL15bsrilu0_generalILj128ELj64ELb1EdEEv20rocsparse_direction_iPKiS3_PT2_S3_iPiS3_S6_21rocsparse_index_base_imNS_24const_host_device_scalarIfEENS8_IdEENS8_IS4_EEb,"axG",@progbits,_ZN9rocsparseL15bsrilu0_generalILj128ELj64ELb1EdEEv20rocsparse_direction_iPKiS3_PT2_S3_iPiS3_S6_21rocsparse_index_base_imNS_24const_host_device_scalarIfEENS8_IdEENS8_IS4_EEb,comdat
	.globl	_ZN9rocsparseL15bsrilu0_generalILj128ELj64ELb1EdEEv20rocsparse_direction_iPKiS3_PT2_S3_iPiS3_S6_21rocsparse_index_base_imNS_24const_host_device_scalarIfEENS8_IdEENS8_IS4_EEb ; -- Begin function _ZN9rocsparseL15bsrilu0_generalILj128ELj64ELb1EdEEv20rocsparse_direction_iPKiS3_PT2_S3_iPiS3_S6_21rocsparse_index_base_imNS_24const_host_device_scalarIfEENS8_IdEENS8_IS4_EEb
	.p2align	8
	.type	_ZN9rocsparseL15bsrilu0_generalILj128ELj64ELb1EdEEv20rocsparse_direction_iPKiS3_PT2_S3_iPiS3_S6_21rocsparse_index_base_imNS_24const_host_device_scalarIfEENS8_IdEENS8_IS4_EEb,@function
_ZN9rocsparseL15bsrilu0_generalILj128ELj64ELb1EdEEv20rocsparse_direction_iPKiS3_PT2_S3_iPiS3_S6_21rocsparse_index_base_imNS_24const_host_device_scalarIfEENS8_IdEENS8_IS4_EEb: ; @_ZN9rocsparseL15bsrilu0_generalILj128ELj64ELb1EdEEv20rocsparse_direction_iPKiS3_PT2_S3_iPiS3_S6_21rocsparse_index_base_imNS_24const_host_device_scalarIfEENS8_IdEENS8_IS4_EEb
; %bb.0:
	s_clause 0x2
	s_load_dword s0, s[4:5], 0x70
	s_load_dwordx2 s[24:25], s[4:5], 0x48
	s_load_dwordx8 s[16:23], s[4:5], 0x50
	s_waitcnt lgkmcnt(0)
	s_bitcmp1_b32 s0, 0
	s_cselect_b32 s0, -1, 0
	s_cmp_eq_u32 s25, 0
	s_cselect_b32 s2, -1, 0
	s_cmp_lg_u32 s25, 0
	s_cselect_b32 s25, -1, 0
	s_or_b32 s7, s2, s0
	s_xor_b32 s3, s7, -1
	s_and_b32 s0, s2, exec_lo
	s_cselect_b32 s1, 0, s21
	s_cselect_b32 s0, 0, s20
	s_and_b32 vcc_lo, exec_lo, s7
	s_cbranch_vccnz .LBB7_2
; %bb.1:
	s_load_dword s0, s[18:19], 0x0
	s_waitcnt lgkmcnt(0)
	v_mov_b32_e32 v27, s0
	s_mov_b64 s[0:1], s[20:21]
	s_branch .LBB7_3
.LBB7_2:
	v_cndmask_b32_e64 v27, s18, 0, s2
.LBB7_3:
	v_mov_b32_e32 v9, s1
	v_cndmask_b32_e64 v1, 0, 1, s3
	v_mov_b32_e32 v8, s0
	s_andn2_b32 vcc_lo, exec_lo, s3
	s_cbranch_vccnz .LBB7_5
; %bb.4:
	v_mov_b32_e32 v2, s20
	v_mov_b32_e32 v3, s21
	flat_load_dwordx2 v[8:9], v[2:3]
.LBB7_5:
	s_and_b32 s0, s2, exec_lo
	s_cselect_b32 s1, 0, s23
	v_cmp_ne_u32_e32 vcc_lo, 1, v1
	s_cselect_b32 s0, 0, s22
	v_mov_b32_e32 v5, s1
	v_mov_b32_e32 v4, s0
	s_cbranch_vccnz .LBB7_7
; %bb.6:
	v_mov_b32_e32 v1, s22
	v_mov_b32_e32 v2, s23
	flat_load_dwordx2 v[4:5], v[1:2]
.LBB7_7:
	s_load_dwordx2 s[26:27], s[4:5], 0x0
	v_lshrrev_b32_e32 v1, 6, v0
	s_lshl_b32 s0, s6, 1
	v_and_or_b32 v1, 0x3fffffe, s0, v1
	s_mov_b32 s0, exec_lo
	s_waitcnt lgkmcnt(0)
	v_cmpx_gt_i32_e64 s27, v1
	s_cbranch_execz .LBB7_142
; %bb.8:
	s_clause 0x1
	s_load_dwordx4 s[20:23], s[4:5], 0x30
	s_load_dwordx2 s[6:7], s[4:5], 0x40
	v_lshlrev_b32_e32 v1, 2, v1
	s_load_dwordx8 s[8:15], s[4:5], 0x8
	v_and_b32_e32 v0, 63, v0
	s_mov_b32 s0, -1
	s_mov_b32 s19, exec_lo
	s_waitcnt lgkmcnt(0)
	global_load_dword v1, v1, s[22:23]
	s_waitcnt vmcnt(0)
	v_ashrrev_i32_e32 v2, 31, v1
	v_lshlrev_b64 v[2:3], 2, v[1:2]
	v_add_co_u32 v6, vcc_lo, s14, v2
	v_add_co_ci_u32_e64 v7, null, s15, v3, vcc_lo
	global_load_dword v6, v[6:7], off
	s_waitcnt vmcnt(0)
	v_cmpx_ne_u32_e32 -1, v6
	s_cbranch_execz .LBB7_136
; %bb.9:
	v_add_co_u32 v10, vcc_lo, s8, v2
	v_add_co_ci_u32_e64 v11, null, s9, v3, vcc_lo
	s_load_dword s18, s[4:5], 0x28
	s_mov_b32 s3, 0
	s_mov_b32 s5, exec_lo
	global_load_dwordx2 v[10:11], v[10:11], off
	s_waitcnt vmcnt(0)
	v_subrev_nc_u32_e32 v10, s24, v10
	v_subrev_nc_u32_e32 v26, s24, v11
	v_cmpx_lt_i32_e64 v10, v6
	s_cbranch_execz .LBB7_77
; %bb.10:
	v_add_nc_u32_e32 v12, v10, v0
	s_waitcnt lgkmcnt(0)
	v_mad_u64_u32 v[14:15], null, s18, v10, v[0:1]
	s_cmp_gt_i32 s18, 0
	v_cmp_gt_i32_e64 s0, s18, v0
	v_ashrrev_i32_e32 v13, 31, v12
	v_cmp_le_i32_e64 s1, s18, v0
	v_cmp_lt_i32_e64 s2, v12, v26
	s_cselect_b32 s22, -1, 0
	v_mul_lo_u32 v28, s18, v14
	v_lshlrev_b64 v[15:16], 2, v[12:13]
	s_cmp_lg_u32 s26, 0
	s_mov_b32 s28, 0
	s_cselect_b32 s23, -1, 0
	s_add_i32 s27, s27, 1
	s_mul_i32 s29, s18, s18
	v_add_co_u32 v13, vcc_lo, s10, v15
	v_add_co_ci_u32_e64 v14, null, s11, v16, vcc_lo
	v_add_nc_u32_e32 v29, 1, v28
	s_add_i32 s30, s18, 1
	s_lshl_b32 s31, s18, 6
	s_add_i32 s33, s18, -1
	s_mov_b32 s34, 0
                                        ; implicit-def: $sgpr35
                                        ; implicit-def: $sgpr36
	s_branch .LBB7_13
.LBB7_11:                               ;   in Loop: Header=BB7_13 Depth=1
	s_or_b32 exec_lo, exec_lo, s4
	s_andn2_b32 s4, s36, exec_lo
	s_and_b32 s28, s28, exec_lo
	s_or_b32 s36, s4, s28
.LBB7_12:                               ;   in Loop: Header=BB7_13 Depth=1
	s_or_b32 exec_lo, exec_lo, s37
	v_add_nc_u32_e32 v10, 1, v10
	s_xor_b32 s3, s3, -1
	v_add_nc_u32_e32 v29, s29, v29
	v_add_nc_u32_e32 v28, s29, v28
	s_mov_b32 s28, s36
	v_cmp_ge_i32_e32 vcc_lo, v10, v6
	s_or_b32 s3, s3, vcc_lo
	s_and_b32 s3, exec_lo, s3
	s_or_b32 s34, s3, s34
	s_andn2_b32 s3, s35, exec_lo
	s_and_b32 s4, s36, exec_lo
	s_or_b32 s35, s3, s4
	s_andn2_b32 exec_lo, exec_lo, s34
	s_cbranch_execz .LBB7_76
.LBB7_13:                               ; =>This Loop Header: Depth=1
                                        ;     Child Loop BB7_17 Depth 2
                                        ;       Child Loop BB7_18 Depth 3
                                        ;     Child Loop BB7_23 Depth 2
                                        ;       Child Loop BB7_28 Depth 3
                                        ;         Child Loop BB7_37 Depth 4
                                        ;     Child Loop BB7_50 Depth 2
                                        ;       Child Loop BB7_55 Depth 3
                                        ;       Child Loop BB7_62 Depth 3
                                        ;         Child Loop BB7_64 Depth 4
                                        ;           Child Loop BB7_66 Depth 5
	v_ashrrev_i32_e32 v11, 31, v10
	s_or_b32 s36, s36, exec_lo
	v_lshlrev_b64 v[15:16], 2, v[10:11]
	v_add_co_u32 v15, vcc_lo, s10, v15
	v_add_co_ci_u32_e64 v16, null, s11, v16, vcc_lo
	s_waitcnt lgkmcnt(0)
	global_load_dword v7, v[15:16], off
	s_waitcnt vmcnt(0)
	v_subrev_nc_u32_e32 v15, s24, v7
	v_ashrrev_i32_e32 v16, 31, v15
	v_lshlrev_b64 v[15:16], 2, v[15:16]
	v_add_co_u32 v17, vcc_lo, s14, v15
	v_add_co_ci_u32_e64 v18, null, s15, v16, vcc_lo
	global_load_dword v31, v[17:18], off
	s_waitcnt vmcnt(0)
	v_cmp_ne_u32_e64 s3, -1, v31
	s_and_saveexec_b32 s37, s3
	s_cbranch_execz .LBB7_12
; %bb.14:                               ;   in Loop: Header=BB7_13 Depth=1
	v_add_co_u32 v17, vcc_lo, s8, v15
	v_add_co_ci_u32_e64 v18, null, s9, v16, vcc_lo
	v_add_co_u32 v15, vcc_lo, s20, v15
	v_add_co_ci_u32_e64 v16, null, s21, v16, vcc_lo
	global_load_dword v32, v[17:18], off offset:4
	global_load_dword v7, v[15:16], off glc dlc
	s_mov_b32 s4, exec_lo
	s_waitcnt vmcnt(0)
	v_cmpx_eq_u32_e32 0, v7
	s_cbranch_execz .LBB7_19
; %bb.15:                               ;   in Loop: Header=BB7_13 Depth=1
	s_mov_b32 s38, 0
	s_mov_b32 s39, 0
	s_branch .LBB7_17
	.p2align	6
.LBB7_16:                               ;   in Loop: Header=BB7_17 Depth=2
	global_load_dword v7, v[15:16], off glc dlc
	s_cmpk_lt_u32 s39, 0xf43
	s_cselect_b32 s40, -1, 0
	s_cmp_lg_u32 s40, 0
	s_addc_u32 s39, s39, 0
	s_waitcnt vmcnt(0)
	v_cmp_ne_u32_e32 vcc_lo, 0, v7
	s_or_b32 s38, vcc_lo, s38
	s_andn2_b32 exec_lo, exec_lo, s38
	s_cbranch_execz .LBB7_19
.LBB7_17:                               ;   Parent Loop BB7_13 Depth=1
                                        ; =>  This Loop Header: Depth=2
                                        ;       Child Loop BB7_18 Depth 3
	s_cmp_eq_u32 s39, 0
	s_mov_b32 s40, s39
	s_cbranch_scc1 .LBB7_16
.LBB7_18:                               ;   Parent Loop BB7_13 Depth=1
                                        ;     Parent Loop BB7_17 Depth=2
                                        ; =>    This Inner Loop Header: Depth=3
	s_add_i32 s40, s40, -1
	s_sleep 1
	s_cmp_eq_u32 s40, 0
	s_cbranch_scc0 .LBB7_18
	s_branch .LBB7_16
.LBB7_19:                               ;   in Loop: Header=BB7_13 Depth=1
	s_or_b32 exec_lo, exec_lo, s4
	v_mul_lo_u32 v30, v10, s18
	s_andn2_b32 vcc_lo, exec_lo, s22
	buffer_gl1_inv
	buffer_gl0_inv
	s_cbranch_vccnz .LBB7_46
; %bb.20:                               ;   in Loop: Header=BB7_13 Depth=1
	v_mul_lo_u32 v33, v31, s18
	v_mad_u64_u32 v[15:16], null, s29, v31, 1
	v_mov_b32_e32 v7, 0
	v_mov_b32_e32 v34, v29
	s_mov_b32 s38, 0
	s_mov_b32 s39, s33
	s_branch .LBB7_23
.LBB7_21:                               ;   in Loop: Header=BB7_23 Depth=2
	s_or_b32 exec_lo, exec_lo, s41
	v_mov_b32_e32 v7, v35
.LBB7_22:                               ;   in Loop: Header=BB7_23 Depth=2
	s_or_b32 exec_lo, exec_lo, s40
	v_cmp_eq_u32_e32 vcc_lo, s18, v7
	v_add_nc_u32_e32 v15, s30, v15
	v_add_nc_u32_e32 v34, 1, v34
	s_add_i32 s39, s39, -1
	s_or_b32 s38, vcc_lo, s38
	s_andn2_b32 exec_lo, exec_lo, s38
	s_cbranch_execz .LBB7_45
.LBB7_23:                               ;   Parent Loop BB7_13 Depth=1
                                        ; =>  This Loop Header: Depth=2
                                        ;       Child Loop BB7_28 Depth 3
                                        ;         Child Loop BB7_37 Depth 4
	v_add_nc_u32_e32 v35, 1, v7
	s_and_saveexec_b32 s4, s1
	s_xor_b32 s4, exec_lo, s4
; %bb.24:                               ;   in Loop: Header=BB7_23 Depth=2
	v_add_nc_u32_e32 v7, 1, v7
                                        ; implicit-def: $vgpr35
; %bb.25:                               ;   in Loop: Header=BB7_23 Depth=2
	s_andn2_saveexec_b32 s40, s4
	s_cbranch_execz .LBB7_22
; %bb.26:                               ;   in Loop: Header=BB7_23 Depth=2
	v_add_nc_u32_e32 v11, v7, v33
	v_cmp_gt_i32_e64 s4, s18, v35
	v_mov_b32_e32 v37, v34
	s_mov_b32 s41, 0
	v_mad_u64_u32 v[16:17], null, v11, s18, v[7:8]
	v_add_nc_u32_e32 v11, v7, v30
	v_mul_lo_u32 v36, v11, s18
	v_ashrrev_i32_e32 v17, 31, v16
	v_mov_b32_e32 v11, v0
	v_lshlrev_b64 v[16:17], 3, v[16:17]
	v_add_co_u32 v16, vcc_lo, s12, v16
	v_add_co_ci_u32_e64 v17, null, s13, v17, vcc_lo
	global_load_dwordx2 v[16:17], v[16:17], off
	s_branch .LBB7_28
.LBB7_27:                               ;   in Loop: Header=BB7_28 Depth=3
	s_or_b32 exec_lo, exec_lo, s42
	v_add_nc_u32_e32 v11, 64, v11
	v_add_nc_u32_e32 v37, s31, v37
	v_cmp_le_i32_e32 vcc_lo, s18, v11
	s_or_b32 s41, vcc_lo, s41
	s_andn2_b32 exec_lo, exec_lo, s41
	s_cbranch_execz .LBB7_21
.LBB7_28:                               ;   Parent Loop BB7_13 Depth=1
                                        ;     Parent Loop BB7_23 Depth=2
                                        ; =>    This Loop Header: Depth=3
                                        ;         Child Loop BB7_37 Depth 4
	v_add_nc_u32_e32 v20, v11, v36
	s_and_b32 vcc_lo, exec_lo, s23
	s_cbranch_vccz .LBB7_43
; %bb.29:                               ;   in Loop: Header=BB7_28 Depth=3
	v_add_nc_u32_e32 v18, v11, v36
	v_add_nc_u32_e32 v21, v11, v30
	s_cbranch_execnz .LBB7_31
.LBB7_30:                               ;   in Loop: Header=BB7_28 Depth=3
	v_mad_u64_u32 v[18:19], null, v21, s18, v[7:8]
.LBB7_31:                               ;   in Loop: Header=BB7_28 Depth=3
	v_ashrrev_i32_e32 v19, 31, v18
	v_lshlrev_b64 v[18:19], 3, v[18:19]
	v_add_co_u32 v18, vcc_lo, s12, v18
	v_add_co_ci_u32_e64 v19, null, s13, v19, vcc_lo
	s_and_b32 vcc_lo, exec_lo, s23
	global_load_dwordx2 v[18:19], v[18:19], off
	s_cbranch_vccz .LBB7_44
; %bb.32:                               ;   in Loop: Header=BB7_28 Depth=3
	s_cbranch_execnz .LBB7_34
.LBB7_33:                               ;   in Loop: Header=BB7_28 Depth=3
	v_mad_u64_u32 v[20:21], null, v21, s18, v[7:8]
.LBB7_34:                               ;   in Loop: Header=BB7_28 Depth=3
	s_waitcnt vmcnt(0)
	v_div_scale_f64 v[21:22], null, v[16:17], v[16:17], v[18:19]
	v_rcp_f64_e32 v[23:24], v[21:22]
	v_fma_f64 v[38:39], -v[21:22], v[23:24], 1.0
	v_fma_f64 v[23:24], v[23:24], v[38:39], v[23:24]
	v_fma_f64 v[38:39], -v[21:22], v[23:24], 1.0
	v_fma_f64 v[23:24], v[23:24], v[38:39], v[23:24]
	v_div_scale_f64 v[38:39], vcc_lo, v[18:19], v[16:17], v[18:19]
	v_mul_f64 v[40:41], v[38:39], v[23:24]
	v_fma_f64 v[21:22], -v[21:22], v[40:41], v[38:39]
	v_div_fmas_f64 v[21:22], v[21:22], v[23:24], v[40:41]
	v_div_fixup_f64 v[18:19], v[21:22], v[16:17], v[18:19]
	v_ashrrev_i32_e32 v21, 31, v20
	v_lshlrev_b64 v[20:21], 3, v[20:21]
	v_add_co_u32 v20, vcc_lo, s12, v20
	v_add_co_ci_u32_e64 v21, null, s13, v21, vcc_lo
	global_store_dwordx2 v[20:21], v[18:19], off
	s_and_saveexec_b32 s42, s4
	s_cbranch_execz .LBB7_27
; %bb.35:                               ;   in Loop: Header=BB7_28 Depth=3
	v_mov_b32_e32 v38, v37
	v_mov_b32_e32 v39, v15
	;; [unrolled: 1-line block ×3, first 2 shown]
	s_mov_b32 s43, s39
	s_branch .LBB7_37
.LBB7_36:                               ;   in Loop: Header=BB7_37 Depth=4
	s_waitcnt vmcnt(0)
	v_fma_f64 v[20:21], -v[18:19], v[20:21], v[22:23]
	v_ashrrev_i32_e32 v25, 31, v24
	v_add_nc_u32_e32 v40, 1, v40
	v_add_nc_u32_e32 v39, 1, v39
	;; [unrolled: 1-line block ×3, first 2 shown]
	s_add_i32 s43, s43, -1
	v_lshlrev_b64 v[22:23], 3, v[24:25]
	s_cmp_eq_u32 s43, 0
	v_add_co_u32 v22, vcc_lo, s12, v22
	v_add_co_ci_u32_e64 v23, null, s13, v23, vcc_lo
	global_store_dwordx2 v[22:23], v[20:21], off
	s_cbranch_scc1 .LBB7_27
.LBB7_37:                               ;   Parent Loop BB7_13 Depth=1
                                        ;     Parent Loop BB7_23 Depth=2
                                        ;       Parent Loop BB7_28 Depth=3
                                        ; =>      This Inner Loop Header: Depth=4
	v_mov_b32_e32 v20, v39
	s_andn2_b32 vcc_lo, exec_lo, s23
	s_cbranch_vccnz .LBB7_39
; %bb.38:                               ;   in Loop: Header=BB7_37 Depth=4
	v_add_nc_u32_e32 v20, v40, v33
	v_mad_u64_u32 v[20:21], null, v20, s18, v[7:8]
.LBB7_39:                               ;   in Loop: Header=BB7_37 Depth=4
	v_ashrrev_i32_e32 v21, 31, v20
	v_add_nc_u32_e32 v25, v40, v30
	v_mov_b32_e32 v22, v38
	v_lshlrev_b64 v[20:21], 3, v[20:21]
	v_add_co_u32 v20, vcc_lo, s12, v20
	v_add_co_ci_u32_e64 v21, null, s13, v21, vcc_lo
	s_andn2_b32 vcc_lo, exec_lo, s23
	global_load_dwordx2 v[20:21], v[20:21], off
	s_cbranch_vccnz .LBB7_41
; %bb.40:                               ;   in Loop: Header=BB7_37 Depth=4
	v_mad_u64_u32 v[22:23], null, v25, s18, v[11:12]
.LBB7_41:                               ;   in Loop: Header=BB7_37 Depth=4
	v_ashrrev_i32_e32 v23, 31, v22
	v_mov_b32_e32 v24, v38
	v_lshlrev_b64 v[22:23], 3, v[22:23]
	v_add_co_u32 v22, vcc_lo, s12, v22
	v_add_co_ci_u32_e64 v23, null, s13, v23, vcc_lo
	s_andn2_b32 vcc_lo, exec_lo, s23
	global_load_dwordx2 v[22:23], v[22:23], off
	s_cbranch_vccnz .LBB7_36
; %bb.42:                               ;   in Loop: Header=BB7_37 Depth=4
	v_mad_u64_u32 v[24:25], null, v25, s18, v[11:12]
	s_branch .LBB7_36
.LBB7_43:                               ;   in Loop: Header=BB7_28 Depth=3
                                        ; implicit-def: $vgpr18
	v_add_nc_u32_e32 v21, v11, v30
	s_branch .LBB7_30
.LBB7_44:                               ;   in Loop: Header=BB7_28 Depth=3
                                        ; implicit-def: $vgpr20
	s_branch .LBB7_33
.LBB7_45:                               ;   in Loop: Header=BB7_13 Depth=1
	s_or_b32 exec_lo, exec_lo, s38
.LBB7_46:                               ;   in Loop: Header=BB7_13 Depth=1
	v_subrev_nc_u32_e32 v11, s24, v32
	v_add_nc_u32_e32 v15, 1, v31
	s_mov_b32 s4, exec_lo
	v_cmpx_lt_i32_e64 v15, v11
	s_cbranch_execz .LBB7_11
; %bb.47:                               ;   in Loop: Header=BB7_13 Depth=1
	v_mul_lo_u32 v22, s29, v15
	s_mov_b32 s38, 0
	s_branch .LBB7_50
.LBB7_48:                               ;   in Loop: Header=BB7_50 Depth=2
	s_or_b32 exec_lo, exec_lo, s39
.LBB7_49:                               ;   in Loop: Header=BB7_50 Depth=2
	v_add_nc_u32_e32 v15, 1, v15
	v_add_nc_u32_e32 v22, s29, v22
	v_cmp_ge_i32_e32 vcc_lo, v15, v11
	s_or_b32 s38, vcc_lo, s38
	s_andn2_b32 exec_lo, exec_lo, s38
	s_cbranch_execz .LBB7_11
.LBB7_50:                               ;   Parent Loop BB7_13 Depth=1
                                        ; =>  This Loop Header: Depth=2
                                        ;       Child Loop BB7_55 Depth 3
                                        ;       Child Loop BB7_62 Depth 3
                                        ;         Child Loop BB7_64 Depth 4
                                        ;           Child Loop BB7_66 Depth 5
	v_ashrrev_i32_e32 v16, 31, v15
	v_lshlrev_b64 v[16:17], 2, v[15:16]
	v_add_co_u32 v16, vcc_lo, s10, v16
	v_add_co_ci_u32_e64 v17, null, s11, v17, vcc_lo
	s_waitcnt lgkmcnt(0)
	global_load_dword v7, v[16:17], off
	v_mov_b32_e32 v17, s27
	s_and_saveexec_b32 s39, s2
	s_cbranch_execz .LBB7_52
; %bb.51:                               ;   in Loop: Header=BB7_50 Depth=2
	global_load_dword v16, v[13:14], off
	s_waitcnt vmcnt(0)
	v_subrev_nc_u32_e32 v17, s24, v16
.LBB7_52:                               ;   in Loop: Header=BB7_50 Depth=2
	s_or_b32 exec_lo, exec_lo, s39
	s_waitcnt vmcnt(0)
	v_subrev_nc_u32_e32 v7, s24, v7
	v_mov_b32_e32 v18, v12
	s_mov_b32 s39, exec_lo
	v_cmpx_lt_i32_e64 v17, v7
	s_cbranch_execz .LBB7_58
; %bb.53:                               ;   in Loop: Header=BB7_50 Depth=2
	v_mov_b32_e32 v16, v12
	s_mov_b32 s40, 0
	s_branch .LBB7_55
	.p2align	6
.LBB7_54:                               ;   in Loop: Header=BB7_55 Depth=3
	s_or_b32 exec_lo, exec_lo, s41
	v_cmp_ge_i32_e32 vcc_lo, v17, v7
	v_mov_b32_e32 v16, v18
	s_or_b32 s40, vcc_lo, s40
	s_andn2_b32 exec_lo, exec_lo, s40
	s_cbranch_execz .LBB7_57
.LBB7_55:                               ;   Parent Loop BB7_13 Depth=1
                                        ;     Parent Loop BB7_50 Depth=2
                                        ; =>    This Inner Loop Header: Depth=3
	v_add_nc_u32_e32 v18, 64, v16
	v_mov_b32_e32 v17, s27
	s_mov_b32 s41, exec_lo
	v_cmpx_lt_i32_e64 v18, v26
	s_cbranch_execz .LBB7_54
; %bb.56:                               ;   in Loop: Header=BB7_55 Depth=3
	v_ashrrev_i32_e32 v17, 31, v16
	v_lshlrev_b64 v[16:17], 2, v[16:17]
	v_add_co_u32 v16, vcc_lo, s10, v16
	v_add_co_ci_u32_e64 v17, null, s11, v17, vcc_lo
	global_load_dword v16, v[16:17], off offset:256
	s_waitcnt vmcnt(0)
	v_subrev_nc_u32_e32 v17, s24, v16
	s_branch .LBB7_54
.LBB7_57:                               ;   in Loop: Header=BB7_50 Depth=2
	s_or_b32 exec_lo, exec_lo, s40
.LBB7_58:                               ;   in Loop: Header=BB7_50 Depth=2
	s_or_b32 exec_lo, exec_lo, s39
	v_cmp_eq_u32_e32 vcc_lo, v17, v7
	s_cbranch_vccz .LBB7_49
; %bb.59:                               ;   in Loop: Header=BB7_50 Depth=2
	s_ff1_i32_b32 s39, vcc_lo
	s_lshl_b32 s39, s39, 2
	v_mov_b32_e32 v7, s39
	ds_bpermute_b32 v7, v7, v18
	s_and_saveexec_b32 s39, s0
	s_cbranch_execz .LBB7_48
; %bb.60:                               ;   in Loop: Header=BB7_50 Depth=2
	v_mul_lo_u32 v23, v15, s18
	s_waitcnt lgkmcnt(0)
	v_mul_lo_u32 v24, v7, s18
	v_mov_b32_e32 v25, v28
	v_mov_b32_e32 v7, v0
	s_mov_b32 s40, 0
	s_branch .LBB7_62
.LBB7_61:                               ;   in Loop: Header=BB7_62 Depth=3
	v_add_nc_u32_e32 v7, 64, v7
	v_add_nc_u32_e32 v25, s31, v25
	v_cmp_le_i32_e32 vcc_lo, s18, v7
	s_or_b32 s40, vcc_lo, s40
	s_andn2_b32 exec_lo, exec_lo, s40
	s_cbranch_execz .LBB7_48
.LBB7_62:                               ;   Parent Loop BB7_13 Depth=1
                                        ;     Parent Loop BB7_50 Depth=2
                                        ; =>    This Loop Header: Depth=3
                                        ;         Child Loop BB7_64 Depth 4
                                        ;           Child Loop BB7_66 Depth 5
	v_add_nc_u32_e32 v16, v7, v24
	v_mov_b32_e32 v32, v22
	s_mov_b32 s41, 0
	v_mul_lo_u32 v31, v16, s18
	s_branch .LBB7_64
.LBB7_63:                               ;   in Loop: Header=BB7_64 Depth=4
	v_ashrrev_i32_e32 v19, 31, v18
	v_add_nc_u32_e32 v32, 1, v32
	s_add_i32 s41, s41, 1
	s_cmp_eq_u32 s41, s18
	v_lshlrev_b64 v[18:19], 3, v[18:19]
	v_add_co_u32 v18, vcc_lo, s12, v18
	v_add_co_ci_u32_e64 v19, null, s13, v19, vcc_lo
	global_load_dwordx2 v[20:21], v[18:19], off
	s_waitcnt vmcnt(0)
	v_add_f64 v[16:17], v[20:21], -v[16:17]
	global_store_dwordx2 v[18:19], v[16:17], off
	s_cbranch_scc1 .LBB7_61
.LBB7_64:                               ;   Parent Loop BB7_13 Depth=1
                                        ;     Parent Loop BB7_50 Depth=2
                                        ;       Parent Loop BB7_62 Depth=3
                                        ; =>      This Loop Header: Depth=4
                                        ;           Child Loop BB7_66 Depth 5
	v_add_nc_u32_e32 v16, s41, v23
	v_mov_b32_e32 v34, v32
	s_mov_b32 s42, 0
	v_mul_lo_u32 v33, v16, s18
	v_mov_b32_e32 v16, 0
	v_mov_b32_e32 v17, 0
	s_inst_prefetch 0x1
	s_branch .LBB7_66
	.p2align	6
.LBB7_65:                               ;   in Loop: Header=BB7_66 Depth=5
	v_ashrrev_i32_e32 v21, 31, v20
	v_add_nc_u32_e32 v34, s18, v34
	s_add_i32 s42, s42, 1
	s_cmp_eq_u32 s18, s42
	v_lshlrev_b64 v[20:21], 3, v[20:21]
	v_add_co_u32 v20, vcc_lo, s12, v20
	v_add_co_ci_u32_e64 v21, null, s13, v21, vcc_lo
	global_load_dwordx2 v[20:21], v[20:21], off
	s_waitcnt vmcnt(0)
	v_fma_f64 v[16:17], v[18:19], v[20:21], v[16:17]
	s_cbranch_scc1 .LBB7_72
.LBB7_66:                               ;   Parent Loop BB7_13 Depth=1
                                        ;     Parent Loop BB7_50 Depth=2
                                        ;       Parent Loop BB7_62 Depth=3
                                        ;         Parent Loop BB7_64 Depth=4
                                        ; =>        This Inner Loop Header: Depth=5
	s_and_b32 vcc_lo, exec_lo, s23
	s_cbranch_vccz .LBB7_71
; %bb.67:                               ;   in Loop: Header=BB7_66 Depth=5
	v_add_nc_u32_e32 v18, s42, v30
	v_mad_u64_u32 v[18:19], null, v18, s18, v[7:8]
	s_cbranch_execnz .LBB7_69
.LBB7_68:                               ;   in Loop: Header=BB7_66 Depth=5
	v_add_nc_u32_e32 v18, s42, v25
.LBB7_69:                               ;   in Loop: Header=BB7_66 Depth=5
	v_ashrrev_i32_e32 v19, 31, v18
	v_mov_b32_e32 v20, v34
	v_lshlrev_b64 v[18:19], 3, v[18:19]
	v_add_co_u32 v18, vcc_lo, s12, v18
	v_add_co_ci_u32_e64 v19, null, s13, v19, vcc_lo
	s_andn2_b32 vcc_lo, exec_lo, s23
	global_load_dwordx2 v[18:19], v[18:19], off
	s_cbranch_vccnz .LBB7_65
; %bb.70:                               ;   in Loop: Header=BB7_66 Depth=5
	v_add_nc_u32_e32 v20, s42, v33
	s_branch .LBB7_65
.LBB7_71:                               ;   in Loop: Header=BB7_66 Depth=5
                                        ; implicit-def: $vgpr18
	s_branch .LBB7_68
.LBB7_72:                               ;   in Loop: Header=BB7_64 Depth=4
	s_inst_prefetch 0x2
	s_and_b32 vcc_lo, exec_lo, s23
	s_cbranch_vccz .LBB7_74
; %bb.73:                               ;   in Loop: Header=BB7_64 Depth=4
	v_add_nc_u32_e32 v18, s41, v24
	v_mad_u64_u32 v[18:19], null, v18, s18, v[7:8]
	s_cbranch_execnz .LBB7_63
	s_branch .LBB7_75
.LBB7_74:                               ;   in Loop: Header=BB7_64 Depth=4
                                        ; implicit-def: $vgpr18
.LBB7_75:                               ;   in Loop: Header=BB7_64 Depth=4
	v_add_nc_u32_e32 v18, s41, v31
	s_branch .LBB7_63
.LBB7_76:
	s_or_b32 exec_lo, exec_lo, s34
	s_and_b32 s3, s35, exec_lo
.LBB7_77:
	s_or_b32 exec_lo, exec_lo, s5
	s_waitcnt lgkmcnt(0)
	v_ashrrev_i32_e32 v7, 31, v6
	s_cmp_gt_i32 s18, 0
	s_mov_b32 s8, 0
	s_cselect_b32 s4, -1, 0
	v_lshlrev_b64 v[10:11], 2, v[6:7]
	v_add_co_u32 v10, vcc_lo, s10, v10
	v_add_co_ci_u32_e64 v11, null, s11, v11, vcc_lo
	global_load_dword v7, v[10:11], off
	s_waitcnt vmcnt(0)
	v_subrev_nc_u32_e32 v7, s24, v7
	v_cmp_eq_u32_e32 vcc_lo, v7, v1
	s_and_b32 s0, s4, vcc_lo
	s_and_saveexec_b32 s5, s0
	s_cbranch_execz .LBB7_111
; %bb.78:
	v_cvt_f64_f32_e32 v[13:14], v27
	v_mul_lo_u32 v23, v6, s18
	s_cmp_eq_u64 s[16:17], 8
	s_mul_i32 s1, s18, s18
	s_cselect_b32 vcc_lo, -1, 0
	s_cmp_lg_u32 s26, 0
	v_mad_u64_u32 v[10:11], null, v6, s1, 1
	s_cselect_b32 s9, -1, 0
	v_add_nc_u32_e32 v12, v23, v0
	s_add_i32 s2, s18, 1
	v_cmp_eq_u32_e64 s0, 0, v0
	v_mov_b32_e32 v7, 0
	s_lshl_b32 s10, s18, 6
	v_mad_u64_u32 v[11:12], null, s18, v12, s[2:3]
	s_add_i32 s11, s18, -1
	s_mov_b32 s15, s3
                                        ; implicit-def: $sgpr14
	v_cndmask_b32_e32 v9, v14, v9, vcc_lo
	v_cndmask_b32_e32 v8, v13, v8, vcc_lo
	s_branch .LBB7_80
.LBB7_79:                               ;   in Loop: Header=BB7_80 Depth=1
	s_or_b32 exec_lo, exec_lo, s1
	v_cmp_eq_u32_e32 vcc_lo, s18, v25
	s_add_i32 s11, s11, -1
	v_add_nc_u32_e32 v10, s2, v10
	v_add_nc_u32_e32 v11, s2, v11
	v_mov_b32_e32 v7, v25
	s_or_b32 s8, vcc_lo, s8
	s_andn2_b32 s1, s14, exec_lo
	s_and_b32 s14, s15, exec_lo
	s_or_b32 s14, s1, s14
	s_andn2_b32 exec_lo, exec_lo, s8
	s_cbranch_execz .LBB7_110
.LBB7_80:                               ; =>This Loop Header: Depth=1
                                        ;     Child Loop BB7_90 Depth 2
                                        ;       Child Loop BB7_99 Depth 3
	v_add_nc_u32_e32 v12, v7, v23
	s_mov_b32 s16, 0
	s_mov_b32 s1, 0
	s_mov_b32 s17, -1
                                        ; implicit-def: $vgpr14_vgpr15
	v_mul_lo_u32 v24, v12, s18
	v_add_nc_u32_e32 v12, v24, v7
	v_ashrrev_i32_e32 v13, 31, v12
	v_lshlrev_b64 v[12:13], 3, v[12:13]
	v_add_co_u32 v16, vcc_lo, s12, v12
	v_add_co_ci_u32_e64 v17, null, s13, v13, vcc_lo
	s_andn2_b32 vcc_lo, exec_lo, s25
	global_load_dwordx2 v[12:13], v[16:17], off
	s_cbranch_vccnz .LBB7_84
; %bb.81:                               ;   in Loop: Header=BB7_80 Depth=1
	s_waitcnt vmcnt(0)
	v_cmp_ge_f64_e64 vcc_lo, v[8:9], |v[12:13]|
	v_cndmask_b32_e32 v15, v13, v5, vcc_lo
	v_cndmask_b32_e32 v14, v12, v4, vcc_lo
	s_and_saveexec_b32 s1, s0
	s_cbranch_execz .LBB7_83
; %bb.82:                               ;   in Loop: Header=BB7_80 Depth=1
	global_store_dwordx2 v[16:17], v[14:15], off
.LBB7_83:                               ;   in Loop: Header=BB7_80 Depth=1
	s_or_b32 exec_lo, exec_lo, s1
	s_mov_b32 s17, 0
	s_mov_b32 s1, -1
.LBB7_84:                               ;   in Loop: Header=BB7_80 Depth=1
	s_andn2_b32 vcc_lo, exec_lo, s17
	s_cbranch_vccnz .LBB7_86
; %bb.85:                               ;   in Loop: Header=BB7_80 Depth=1
	s_waitcnt vmcnt(0)
	v_cmp_neq_f64_e32 vcc_lo, 0, v[12:13]
	s_andn2_b32 s1, s1, exec_lo
	s_mov_b32 s16, -1
	s_and_b32 s17, vcc_lo, exec_lo
	s_or_b32 s1, s1, s17
                                        ; implicit-def: $vgpr25
	s_and_saveexec_b32 s17, s1
	s_xor_b32 s17, exec_lo, s17
	s_cbranch_execnz .LBB7_87
	s_branch .LBB7_108
.LBB7_86:                               ;   in Loop: Header=BB7_80 Depth=1
	s_waitcnt vmcnt(0)
	v_mov_b32_e32 v12, v14
	v_mov_b32_e32 v13, v15
                                        ; implicit-def: $vgpr25
	s_and_saveexec_b32 s17, s1
	s_xor_b32 s17, exec_lo, s17
	s_cbranch_execz .LBB7_108
.LBB7_87:                               ;   in Loop: Header=BB7_80 Depth=1
	v_add_nc_u32_e32 v25, 1, v7
	s_mov_b32 s22, exec_lo
	v_add_nc_u32_e32 v14, v25, v0
	v_cmpx_gt_i32_e64 s18, v14
	s_cbranch_execz .LBB7_107
; %bb.88:                               ;   in Loop: Header=BB7_80 Depth=1
	v_cmp_gt_i32_e64 s1, s18, v25
	v_mov_b32_e32 v27, v11
	s_mov_b32 s23, 0
	s_branch .LBB7_90
.LBB7_89:                               ;   in Loop: Header=BB7_90 Depth=2
	s_or_b32 exec_lo, exec_lo, s27
	v_add_nc_u32_e32 v14, 64, v14
	v_add_nc_u32_e32 v27, s10, v27
	v_cmp_le_i32_e32 vcc_lo, s18, v14
	s_or_b32 s23, vcc_lo, s23
	s_andn2_b32 exec_lo, exec_lo, s23
	s_cbranch_execz .LBB7_107
.LBB7_90:                               ;   Parent Loop BB7_80 Depth=1
                                        ; =>  This Loop Header: Depth=2
                                        ;       Child Loop BB7_99 Depth 3
	v_add_nc_u32_e32 v17, v14, v24
	s_and_b32 vcc_lo, exec_lo, s9
	s_cbranch_vccz .LBB7_105
; %bb.91:                               ;   in Loop: Header=BB7_90 Depth=2
	v_add_nc_u32_e32 v15, v14, v24
	s_cbranch_execnz .LBB7_93
.LBB7_92:                               ;   in Loop: Header=BB7_90 Depth=2
	v_add_nc_u32_e32 v15, v14, v23
	v_mad_u64_u32 v[15:16], null, v15, s18, v[7:8]
.LBB7_93:                               ;   in Loop: Header=BB7_90 Depth=2
	v_ashrrev_i32_e32 v16, 31, v15
	v_lshlrev_b64 v[15:16], 3, v[15:16]
	v_add_co_u32 v15, vcc_lo, s12, v15
	v_add_co_ci_u32_e64 v16, null, s13, v16, vcc_lo
	s_and_b32 vcc_lo, exec_lo, s9
	global_load_dwordx2 v[15:16], v[15:16], off
	s_cbranch_vccz .LBB7_106
; %bb.94:                               ;   in Loop: Header=BB7_90 Depth=2
	s_cbranch_execnz .LBB7_96
.LBB7_95:                               ;   in Loop: Header=BB7_90 Depth=2
	v_add_nc_u32_e32 v17, v14, v23
	v_mad_u64_u32 v[17:18], null, v17, s18, v[7:8]
.LBB7_96:                               ;   in Loop: Header=BB7_90 Depth=2
	s_waitcnt vmcnt(0)
	v_div_scale_f64 v[18:19], null, v[12:13], v[12:13], v[15:16]
	v_rcp_f64_e32 v[20:21], v[18:19]
	v_fma_f64 v[28:29], -v[18:19], v[20:21], 1.0
	v_fma_f64 v[20:21], v[20:21], v[28:29], v[20:21]
	v_fma_f64 v[28:29], -v[18:19], v[20:21], 1.0
	v_fma_f64 v[20:21], v[20:21], v[28:29], v[20:21]
	v_div_scale_f64 v[28:29], vcc_lo, v[15:16], v[12:13], v[15:16]
	v_mul_f64 v[30:31], v[28:29], v[20:21]
	v_fma_f64 v[18:19], -v[18:19], v[30:31], v[28:29]
	v_div_fmas_f64 v[18:19], v[18:19], v[20:21], v[30:31]
	v_div_fixup_f64 v[15:16], v[18:19], v[12:13], v[15:16]
	v_ashrrev_i32_e32 v18, 31, v17
	v_lshlrev_b64 v[17:18], 3, v[17:18]
	v_add_co_u32 v17, vcc_lo, s12, v17
	v_add_co_ci_u32_e64 v18, null, s13, v18, vcc_lo
	global_store_dwordx2 v[17:18], v[15:16], off
	s_and_saveexec_b32 s27, s1
	s_cbranch_execz .LBB7_89
; %bb.97:                               ;   in Loop: Header=BB7_90 Depth=2
	v_mov_b32_e32 v28, v27
	v_mov_b32_e32 v29, v10
	;; [unrolled: 1-line block ×3, first 2 shown]
	s_mov_b32 s28, s11
	s_branch .LBB7_99
.LBB7_98:                               ;   in Loop: Header=BB7_99 Depth=3
	s_waitcnt vmcnt(0)
	v_fma_f64 v[17:18], -v[15:16], v[17:18], v[19:20]
	v_ashrrev_i32_e32 v22, 31, v21
	v_add_nc_u32_e32 v30, 1, v30
	v_add_nc_u32_e32 v29, 1, v29
	;; [unrolled: 1-line block ×3, first 2 shown]
	s_add_i32 s28, s28, -1
	v_lshlrev_b64 v[19:20], 3, v[21:22]
	s_cmp_eq_u32 s28, 0
	v_add_co_u32 v19, vcc_lo, s12, v19
	v_add_co_ci_u32_e64 v20, null, s13, v20, vcc_lo
	global_store_dwordx2 v[19:20], v[17:18], off
	s_cbranch_scc1 .LBB7_89
.LBB7_99:                               ;   Parent Loop BB7_80 Depth=1
                                        ;     Parent Loop BB7_90 Depth=2
                                        ; =>    This Inner Loop Header: Depth=3
	v_add_nc_u32_e32 v22, v30, v23
	v_mov_b32_e32 v17, v29
	s_andn2_b32 vcc_lo, exec_lo, s9
	s_cbranch_vccnz .LBB7_101
; %bb.100:                              ;   in Loop: Header=BB7_99 Depth=3
	v_mad_u64_u32 v[17:18], null, v22, s18, v[7:8]
.LBB7_101:                              ;   in Loop: Header=BB7_99 Depth=3
	v_ashrrev_i32_e32 v18, 31, v17
	v_mov_b32_e32 v19, v28
	v_lshlrev_b64 v[17:18], 3, v[17:18]
	v_add_co_u32 v17, vcc_lo, s12, v17
	v_add_co_ci_u32_e64 v18, null, s13, v18, vcc_lo
	s_andn2_b32 vcc_lo, exec_lo, s9
	global_load_dwordx2 v[17:18], v[17:18], off
	s_cbranch_vccnz .LBB7_103
; %bb.102:                              ;   in Loop: Header=BB7_99 Depth=3
	v_mad_u64_u32 v[19:20], null, v22, s18, v[14:15]
.LBB7_103:                              ;   in Loop: Header=BB7_99 Depth=3
	v_ashrrev_i32_e32 v20, 31, v19
	v_mov_b32_e32 v21, v28
	v_lshlrev_b64 v[19:20], 3, v[19:20]
	v_add_co_u32 v19, vcc_lo, s12, v19
	v_add_co_ci_u32_e64 v20, null, s13, v20, vcc_lo
	s_andn2_b32 vcc_lo, exec_lo, s9
	global_load_dwordx2 v[19:20], v[19:20], off
	s_cbranch_vccnz .LBB7_98
; %bb.104:                              ;   in Loop: Header=BB7_99 Depth=3
	v_mad_u64_u32 v[21:22], null, v22, s18, v[14:15]
	s_branch .LBB7_98
.LBB7_105:                              ;   in Loop: Header=BB7_90 Depth=2
                                        ; implicit-def: $vgpr15
	s_branch .LBB7_92
.LBB7_106:                              ;   in Loop: Header=BB7_90 Depth=2
                                        ; implicit-def: $vgpr17
	s_branch .LBB7_95
.LBB7_107:                              ;   in Loop: Header=BB7_80 Depth=1
	s_or_b32 exec_lo, exec_lo, s22
	s_andn2_b32 s16, s16, exec_lo
.LBB7_108:                              ;   in Loop: Header=BB7_80 Depth=1
	s_or_b32 exec_lo, exec_lo, s17
	s_andn2_b32 s1, s15, exec_lo
	s_and_b32 s15, s15, exec_lo
	s_or_b32 s15, s1, s15
	s_and_saveexec_b32 s1, s16
	s_cbranch_execz .LBB7_79
; %bb.109:                              ;   in Loop: Header=BB7_80 Depth=1
	v_add_nc_u32_e32 v25, 1, v7
	s_or_b32 s15, s15, exec_lo
	s_branch .LBB7_79
.LBB7_110:
	s_or_b32 exec_lo, exec_lo, s8
	s_andn2_b32 s0, s3, exec_lo
	s_and_b32 s1, s14, exec_lo
	s_or_b32 s3, s0, s1
.LBB7_111:
	s_or_b32 exec_lo, exec_lo, s5
	v_add_nc_u32_e32 v12, 1, v6
	s_mov_b32 s1, exec_lo
	v_cmpx_lt_i32_e64 v12, v26
	s_cbranch_execz .LBB7_135
; %bb.112:
	v_mul_lo_u32 v13, v6, s18
	s_mul_i32 s2, s18, s18
	v_cmp_gt_i32_e64 s0, s18, v0
	v_mul_lo_u32 v6, s2, v12
	s_cmp_lg_u32 s26, 0
	s_mov_b32 s5, 0
	s_cselect_b32 s8, -1, 0
	s_add_i32 s9, s18, 1
	v_mad_u64_u32 v[4:5], null, s18, v13, s[18:19]
	s_add_i32 s10, s18, -1
	v_add3_u32 v14, v6, s18, v0
	s_branch .LBB7_114
.LBB7_113:                              ;   in Loop: Header=BB7_114 Depth=1
	v_add_nc_u32_e32 v12, 1, v12
	v_add_nc_u32_e32 v14, s2, v14
	v_cmp_ge_i32_e32 vcc_lo, v12, v26
	s_or_b32 s5, vcc_lo, s5
	s_andn2_b32 exec_lo, exec_lo, s5
	s_cbranch_execz .LBB7_135
.LBB7_114:                              ; =>This Loop Header: Depth=1
                                        ;     Child Loop BB7_117 Depth 2
                                        ;       Child Loop BB7_120 Depth 3
                                        ;         Child Loop BB7_123 Depth 4
	s_andn2_b32 vcc_lo, exec_lo, s4
	s_cbranch_vccnz .LBB7_113
; %bb.115:                              ;   in Loop: Header=BB7_114 Depth=1
	v_mul_lo_u32 v15, v12, s18
	v_mov_b32_e32 v16, v14
	v_mov_b32_e32 v17, v4
	s_mov_b32 s14, 0
	s_mov_b32 s11, s10
	s_branch .LBB7_117
.LBB7_116:                              ;   in Loop: Header=BB7_117 Depth=2
	s_or_b32 exec_lo, exec_lo, s16
	v_add_nc_u32_e32 v17, s9, v17
	v_add_nc_u32_e32 v16, s18, v16
	s_add_i32 s11, s11, -1
	s_cmp_eq_u32 s15, s18
	s_mov_b32 s14, s15
	s_cbranch_scc1 .LBB7_113
.LBB7_117:                              ;   Parent Loop BB7_114 Depth=1
                                        ; =>  This Loop Header: Depth=2
                                        ;       Child Loop BB7_120 Depth 3
                                        ;         Child Loop BB7_123 Depth 4
	s_add_i32 s15, s14, 1
	s_and_saveexec_b32 s16, s0
	s_cbranch_execz .LBB7_116
; %bb.118:                              ;   in Loop: Header=BB7_117 Depth=2
	v_add_nc_u32_e32 v5, s14, v13
	v_add_nc_u32_e32 v6, s14, v15
	v_mov_b32_e32 v20, v16
	v_mov_b32_e32 v21, v0
	s_cmp_lt_i32 s15, s18
	v_mul_lo_u32 v18, v5, s18
	v_mul_lo_u32 v19, v6, s18
	s_cselect_b32 s17, -1, 0
	s_mov_b32 s22, 0
	s_branch .LBB7_120
.LBB7_119:                              ;   in Loop: Header=BB7_120 Depth=3
	v_add_nc_u32_e32 v21, 64, v21
	v_add_nc_u32_e32 v20, 64, v20
	v_cmp_le_i32_e32 vcc_lo, s18, v21
	s_or_b32 s22, vcc_lo, s22
	s_andn2_b32 exec_lo, exec_lo, s22
	s_cbranch_execz .LBB7_116
.LBB7_120:                              ;   Parent Loop BB7_114 Depth=1
                                        ;     Parent Loop BB7_117 Depth=2
                                        ; =>    This Loop Header: Depth=3
                                        ;         Child Loop BB7_123 Depth 4
	s_andn2_b32 vcc_lo, exec_lo, s17
	s_cbranch_vccnz .LBB7_119
; %bb.121:                              ;   in Loop: Header=BB7_120 Depth=3
	v_add_nc_u32_e32 v5, v21, v15
	v_add_nc_u32_e32 v24, v21, v19
	s_mov_b32 s23, 0
	s_mov_b32 s25, s11
	;; [unrolled: 1-line block ×3, first 2 shown]
	v_mul_lo_u32 v22, v5, s18
	v_add_nc_u32_e32 v23, s14, v22
	s_branch .LBB7_123
.LBB7_122:                              ;   in Loop: Header=BB7_123 Depth=4
	s_waitcnt vmcnt(0)
	v_fma_f64 v[5:6], -v[5:6], v[7:8], v[10:11]
	v_ashrrev_i32_e32 v10, 31, v9
	s_add_i32 s25, s25, -1
	s_add_i32 s26, s26, 1
	s_add_i32 s23, s23, s18
	s_cmp_eq_u32 s25, 0
	v_lshlrev_b64 v[7:8], 3, v[9:10]
	v_add_co_u32 v7, vcc_lo, s12, v7
	v_add_co_ci_u32_e64 v8, null, s13, v8, vcc_lo
	global_store_dwordx2 v[7:8], v[5:6], off
	s_cbranch_scc1 .LBB7_119
.LBB7_123:                              ;   Parent Loop BB7_114 Depth=1
                                        ;     Parent Loop BB7_117 Depth=2
                                        ;       Parent Loop BB7_120 Depth=3
                                        ; =>      This Inner Loop Header: Depth=4
	s_and_b32 vcc_lo, exec_lo, s8
	s_cbranch_vccz .LBB7_131
; %bb.124:                              ;   in Loop: Header=BB7_123 Depth=4
	v_add_nc_u32_e32 v5, s26, v18
	v_mov_b32_e32 v7, v23
	s_cbranch_execnz .LBB7_126
.LBB7_125:                              ;   in Loop: Header=BB7_123 Depth=4
	v_add_nc_u32_e32 v5, s23, v17
	v_mov_b32_e32 v7, v24
.LBB7_126:                              ;   in Loop: Header=BB7_123 Depth=4
	v_ashrrev_i32_e32 v6, 31, v5
	v_ashrrev_i32_e32 v8, 31, v7
	v_add_nc_u32_e32 v9, s26, v22
	v_lshlrev_b64 v[5:6], 3, v[5:6]
	v_lshlrev_b64 v[7:8], 3, v[7:8]
	v_add_co_u32 v5, vcc_lo, s12, v5
	v_add_co_ci_u32_e64 v6, null, s13, v6, vcc_lo
	v_add_co_u32 v7, vcc_lo, s12, v7
	v_add_co_ci_u32_e64 v8, null, s13, v8, vcc_lo
	s_clause 0x1
	global_load_dwordx2 v[5:6], v[5:6], off
	global_load_dwordx2 v[7:8], v[7:8], off
	s_and_b32 vcc_lo, exec_lo, s8
	s_cbranch_vccz .LBB7_132
; %bb.127:                              ;   in Loop: Header=BB7_123 Depth=4
	v_add_nc_u32_e32 v10, s26, v22
	v_add_nc_u32_e32 v25, s23, v20
	s_cbranch_execnz .LBB7_129
.LBB7_128:                              ;   in Loop: Header=BB7_123 Depth=4
	v_add_nc_u32_e32 v10, s23, v20
.LBB7_129:                              ;   in Loop: Header=BB7_123 Depth=4
	v_ashrrev_i32_e32 v11, 31, v10
	v_lshlrev_b64 v[10:11], 3, v[10:11]
	v_add_co_u32 v10, vcc_lo, s12, v10
	v_add_co_ci_u32_e64 v11, null, s13, v11, vcc_lo
	s_and_b32 vcc_lo, exec_lo, s8
	global_load_dwordx2 v[10:11], v[10:11], off
	s_cbranch_vccz .LBB7_133
; %bb.130:                              ;   in Loop: Header=BB7_123 Depth=4
	s_cbranch_execnz .LBB7_122
	s_branch .LBB7_134
.LBB7_131:                              ;   in Loop: Header=BB7_123 Depth=4
                                        ; implicit-def: $vgpr5
	v_mov_b32_e32 v7, v23
	s_branch .LBB7_125
.LBB7_132:                              ;   in Loop: Header=BB7_123 Depth=4
                                        ; implicit-def: $vgpr10
	v_add_nc_u32_e32 v25, s23, v20
	s_branch .LBB7_128
.LBB7_133:                              ;   in Loop: Header=BB7_123 Depth=4
                                        ; implicit-def: $vgpr9
.LBB7_134:                              ;   in Loop: Header=BB7_123 Depth=4
	v_mov_b32_e32 v9, v25
	s_branch .LBB7_122
.LBB7_135:
	s_or_b32 exec_lo, exec_lo, s1
	s_orn2_b32 s0, s3, exec_lo
.LBB7_136:
	s_or_b32 exec_lo, exec_lo, s19
	v_cmp_eq_u32_e32 vcc_lo, 0, v0
	s_and_b32 exec_lo, exec_lo, vcc_lo
	s_cbranch_execz .LBB7_142
; %bb.137:
	v_add_co_u32 v2, vcc_lo, s20, v2
	v_add_co_ci_u32_e64 v3, null, s21, v3, vcc_lo
	v_mov_b32_e32 v0, 1
	s_waitcnt_vscnt null, 0x0
	global_store_dword v[2:3], v0, off
	s_and_b32 exec_lo, exec_lo, s0
	s_cbranch_execz .LBB7_142
; %bb.138:
	v_add_nc_u32_e32 v0, s24, v1
	s_mov_b32 s1, exec_lo
	s_brev_b32 s0, -2
.LBB7_139:                              ; =>This Inner Loop Header: Depth=1
	s_ff1_i32_b32 s2, s1
	v_readlane_b32 s3, v0, s2
	s_lshl_b32 s2, 1, s2
	s_andn2_b32 s1, s1, s2
	s_min_i32 s0, s0, s3
	s_cmp_lg_u32 s1, 0
	s_cbranch_scc1 .LBB7_139
; %bb.140:
	v_mbcnt_lo_u32_b32 v0, exec_lo, 0
	s_mov_b32 s1, exec_lo
	v_cmpx_eq_u32_e32 0, v0
	s_xor_b32 s1, exec_lo, s1
	s_cbranch_execz .LBB7_142
; %bb.141:
	v_mov_b32_e32 v0, 0
	v_mov_b32_e32 v1, s0
	global_atomic_smin v0, v1, s[6:7]
.LBB7_142:
	s_endpgm
	.section	.rodata,"a",@progbits
	.p2align	6, 0x0
	.amdhsa_kernel _ZN9rocsparseL15bsrilu0_generalILj128ELj64ELb1EdEEv20rocsparse_direction_iPKiS3_PT2_S3_iPiS3_S6_21rocsparse_index_base_imNS_24const_host_device_scalarIfEENS8_IdEENS8_IS4_EEb
		.amdhsa_group_segment_fixed_size 0
		.amdhsa_private_segment_fixed_size 0
		.amdhsa_kernarg_size 116
		.amdhsa_user_sgpr_count 6
		.amdhsa_user_sgpr_private_segment_buffer 1
		.amdhsa_user_sgpr_dispatch_ptr 0
		.amdhsa_user_sgpr_queue_ptr 0
		.amdhsa_user_sgpr_kernarg_segment_ptr 1
		.amdhsa_user_sgpr_dispatch_id 0
		.amdhsa_user_sgpr_flat_scratch_init 0
		.amdhsa_user_sgpr_private_segment_size 0
		.amdhsa_wavefront_size32 1
		.amdhsa_uses_dynamic_stack 0
		.amdhsa_system_sgpr_private_segment_wavefront_offset 0
		.amdhsa_system_sgpr_workgroup_id_x 1
		.amdhsa_system_sgpr_workgroup_id_y 0
		.amdhsa_system_sgpr_workgroup_id_z 0
		.amdhsa_system_sgpr_workgroup_info 0
		.amdhsa_system_vgpr_workitem_id 0
		.amdhsa_next_free_vgpr 42
		.amdhsa_next_free_sgpr 44
		.amdhsa_reserve_vcc 1
		.amdhsa_reserve_flat_scratch 0
		.amdhsa_float_round_mode_32 0
		.amdhsa_float_round_mode_16_64 0
		.amdhsa_float_denorm_mode_32 3
		.amdhsa_float_denorm_mode_16_64 3
		.amdhsa_dx10_clamp 1
		.amdhsa_ieee_mode 1
		.amdhsa_fp16_overflow 0
		.amdhsa_workgroup_processor_mode 1
		.amdhsa_memory_ordered 1
		.amdhsa_forward_progress 1
		.amdhsa_shared_vgpr_count 0
		.amdhsa_exception_fp_ieee_invalid_op 0
		.amdhsa_exception_fp_denorm_src 0
		.amdhsa_exception_fp_ieee_div_zero 0
		.amdhsa_exception_fp_ieee_overflow 0
		.amdhsa_exception_fp_ieee_underflow 0
		.amdhsa_exception_fp_ieee_inexact 0
		.amdhsa_exception_int_div_zero 0
	.end_amdhsa_kernel
	.section	.text._ZN9rocsparseL15bsrilu0_generalILj128ELj64ELb1EdEEv20rocsparse_direction_iPKiS3_PT2_S3_iPiS3_S6_21rocsparse_index_base_imNS_24const_host_device_scalarIfEENS8_IdEENS8_IS4_EEb,"axG",@progbits,_ZN9rocsparseL15bsrilu0_generalILj128ELj64ELb1EdEEv20rocsparse_direction_iPKiS3_PT2_S3_iPiS3_S6_21rocsparse_index_base_imNS_24const_host_device_scalarIfEENS8_IdEENS8_IS4_EEb,comdat
.Lfunc_end7:
	.size	_ZN9rocsparseL15bsrilu0_generalILj128ELj64ELb1EdEEv20rocsparse_direction_iPKiS3_PT2_S3_iPiS3_S6_21rocsparse_index_base_imNS_24const_host_device_scalarIfEENS8_IdEENS8_IS4_EEb, .Lfunc_end7-_ZN9rocsparseL15bsrilu0_generalILj128ELj64ELb1EdEEv20rocsparse_direction_iPKiS3_PT2_S3_iPiS3_S6_21rocsparse_index_base_imNS_24const_host_device_scalarIfEENS8_IdEENS8_IS4_EEb
                                        ; -- End function
	.set _ZN9rocsparseL15bsrilu0_generalILj128ELj64ELb1EdEEv20rocsparse_direction_iPKiS3_PT2_S3_iPiS3_S6_21rocsparse_index_base_imNS_24const_host_device_scalarIfEENS8_IdEENS8_IS4_EEb.num_vgpr, 42
	.set _ZN9rocsparseL15bsrilu0_generalILj128ELj64ELb1EdEEv20rocsparse_direction_iPKiS3_PT2_S3_iPiS3_S6_21rocsparse_index_base_imNS_24const_host_device_scalarIfEENS8_IdEENS8_IS4_EEb.num_agpr, 0
	.set _ZN9rocsparseL15bsrilu0_generalILj128ELj64ELb1EdEEv20rocsparse_direction_iPKiS3_PT2_S3_iPiS3_S6_21rocsparse_index_base_imNS_24const_host_device_scalarIfEENS8_IdEENS8_IS4_EEb.numbered_sgpr, 44
	.set _ZN9rocsparseL15bsrilu0_generalILj128ELj64ELb1EdEEv20rocsparse_direction_iPKiS3_PT2_S3_iPiS3_S6_21rocsparse_index_base_imNS_24const_host_device_scalarIfEENS8_IdEENS8_IS4_EEb.num_named_barrier, 0
	.set _ZN9rocsparseL15bsrilu0_generalILj128ELj64ELb1EdEEv20rocsparse_direction_iPKiS3_PT2_S3_iPiS3_S6_21rocsparse_index_base_imNS_24const_host_device_scalarIfEENS8_IdEENS8_IS4_EEb.private_seg_size, 0
	.set _ZN9rocsparseL15bsrilu0_generalILj128ELj64ELb1EdEEv20rocsparse_direction_iPKiS3_PT2_S3_iPiS3_S6_21rocsparse_index_base_imNS_24const_host_device_scalarIfEENS8_IdEENS8_IS4_EEb.uses_vcc, 1
	.set _ZN9rocsparseL15bsrilu0_generalILj128ELj64ELb1EdEEv20rocsparse_direction_iPKiS3_PT2_S3_iPiS3_S6_21rocsparse_index_base_imNS_24const_host_device_scalarIfEENS8_IdEENS8_IS4_EEb.uses_flat_scratch, 0
	.set _ZN9rocsparseL15bsrilu0_generalILj128ELj64ELb1EdEEv20rocsparse_direction_iPKiS3_PT2_S3_iPiS3_S6_21rocsparse_index_base_imNS_24const_host_device_scalarIfEENS8_IdEENS8_IS4_EEb.has_dyn_sized_stack, 0
	.set _ZN9rocsparseL15bsrilu0_generalILj128ELj64ELb1EdEEv20rocsparse_direction_iPKiS3_PT2_S3_iPiS3_S6_21rocsparse_index_base_imNS_24const_host_device_scalarIfEENS8_IdEENS8_IS4_EEb.has_recursion, 0
	.set _ZN9rocsparseL15bsrilu0_generalILj128ELj64ELb1EdEEv20rocsparse_direction_iPKiS3_PT2_S3_iPiS3_S6_21rocsparse_index_base_imNS_24const_host_device_scalarIfEENS8_IdEENS8_IS4_EEb.has_indirect_call, 0
	.section	.AMDGPU.csdata,"",@progbits
; Kernel info:
; codeLenInByte = 4184
; TotalNumSgprs: 46
; NumVgprs: 42
; ScratchSize: 0
; MemoryBound: 0
; FloatMode: 240
; IeeeMode: 1
; LDSByteSize: 0 bytes/workgroup (compile time only)
; SGPRBlocks: 0
; VGPRBlocks: 5
; NumSGPRsForWavesPerEU: 46
; NumVGPRsForWavesPerEU: 42
; Occupancy: 16
; WaveLimiterHint : 1
; COMPUTE_PGM_RSRC2:SCRATCH_EN: 0
; COMPUTE_PGM_RSRC2:USER_SGPR: 6
; COMPUTE_PGM_RSRC2:TRAP_HANDLER: 0
; COMPUTE_PGM_RSRC2:TGID_X_EN: 1
; COMPUTE_PGM_RSRC2:TGID_Y_EN: 0
; COMPUTE_PGM_RSRC2:TGID_Z_EN: 0
; COMPUTE_PGM_RSRC2:TIDIG_COMP_CNT: 0
	.section	.text._ZN9rocsparseL15bsrilu0_generalILj128ELj32ELb0EdEEv20rocsparse_direction_iPKiS3_PT2_S3_iPiS3_S6_21rocsparse_index_base_imNS_24const_host_device_scalarIfEENS8_IdEENS8_IS4_EEb,"axG",@progbits,_ZN9rocsparseL15bsrilu0_generalILj128ELj32ELb0EdEEv20rocsparse_direction_iPKiS3_PT2_S3_iPiS3_S6_21rocsparse_index_base_imNS_24const_host_device_scalarIfEENS8_IdEENS8_IS4_EEb,comdat
	.globl	_ZN9rocsparseL15bsrilu0_generalILj128ELj32ELb0EdEEv20rocsparse_direction_iPKiS3_PT2_S3_iPiS3_S6_21rocsparse_index_base_imNS_24const_host_device_scalarIfEENS8_IdEENS8_IS4_EEb ; -- Begin function _ZN9rocsparseL15bsrilu0_generalILj128ELj32ELb0EdEEv20rocsparse_direction_iPKiS3_PT2_S3_iPiS3_S6_21rocsparse_index_base_imNS_24const_host_device_scalarIfEENS8_IdEENS8_IS4_EEb
	.p2align	8
	.type	_ZN9rocsparseL15bsrilu0_generalILj128ELj32ELb0EdEEv20rocsparse_direction_iPKiS3_PT2_S3_iPiS3_S6_21rocsparse_index_base_imNS_24const_host_device_scalarIfEENS8_IdEENS8_IS4_EEb,@function
_ZN9rocsparseL15bsrilu0_generalILj128ELj32ELb0EdEEv20rocsparse_direction_iPKiS3_PT2_S3_iPiS3_S6_21rocsparse_index_base_imNS_24const_host_device_scalarIfEENS8_IdEENS8_IS4_EEb: ; @_ZN9rocsparseL15bsrilu0_generalILj128ELj32ELb0EdEEv20rocsparse_direction_iPKiS3_PT2_S3_iPiS3_S6_21rocsparse_index_base_imNS_24const_host_device_scalarIfEENS8_IdEENS8_IS4_EEb
; %bb.0:
	s_clause 0x2
	s_load_dword s0, s[4:5], 0x70
	s_load_dwordx2 s[24:25], s[4:5], 0x48
	s_load_dwordx8 s[16:23], s[4:5], 0x50
	s_waitcnt lgkmcnt(0)
	s_bitcmp1_b32 s0, 0
	s_cselect_b32 s0, -1, 0
	s_cmp_eq_u32 s25, 0
	s_cselect_b32 s2, -1, 0
	s_cmp_lg_u32 s25, 0
	s_cselect_b32 s25, -1, 0
	s_or_b32 s7, s2, s0
	s_xor_b32 s3, s7, -1
	s_and_b32 s0, s2, exec_lo
	s_cselect_b32 s1, 0, s21
	s_cselect_b32 s0, 0, s20
	s_and_b32 vcc_lo, exec_lo, s7
	s_cbranch_vccnz .LBB8_2
; %bb.1:
	s_load_dword s0, s[18:19], 0x0
	s_waitcnt lgkmcnt(0)
	v_mov_b32_e32 v27, s0
	s_mov_b64 s[0:1], s[20:21]
	s_branch .LBB8_3
.LBB8_2:
	v_cndmask_b32_e64 v27, s18, 0, s2
.LBB8_3:
	v_mov_b32_e32 v9, s1
	v_cndmask_b32_e64 v1, 0, 1, s3
	v_mov_b32_e32 v8, s0
	s_andn2_b32 vcc_lo, exec_lo, s3
	s_cbranch_vccnz .LBB8_5
; %bb.4:
	v_mov_b32_e32 v2, s20
	v_mov_b32_e32 v3, s21
	flat_load_dwordx2 v[8:9], v[2:3]
.LBB8_5:
	s_and_b32 s0, s2, exec_lo
	s_cselect_b32 s1, 0, s23
	v_cmp_ne_u32_e32 vcc_lo, 1, v1
	s_cselect_b32 s0, 0, s22
	v_mov_b32_e32 v5, s1
	v_mov_b32_e32 v4, s0
	s_cbranch_vccnz .LBB8_7
; %bb.6:
	v_mov_b32_e32 v1, s22
	v_mov_b32_e32 v2, s23
	flat_load_dwordx2 v[4:5], v[1:2]
.LBB8_7:
	s_load_dwordx2 s[26:27], s[4:5], 0x0
	v_lshrrev_b32_e32 v1, 5, v0
	s_lshl_b32 s0, s6, 2
	v_and_or_b32 v1, 0x7fffffc, s0, v1
	s_mov_b32 s0, exec_lo
	s_waitcnt lgkmcnt(0)
	v_cmpx_gt_i32_e64 s27, v1
	s_cbranch_execz .LBB8_140
; %bb.8:
	s_clause 0x1
	s_load_dwordx4 s[20:23], s[4:5], 0x30
	s_load_dwordx2 s[6:7], s[4:5], 0x40
	v_lshlrev_b32_e32 v1, 2, v1
	s_load_dwordx8 s[8:15], s[4:5], 0x8
	v_and_b32_e32 v0, 31, v0
	s_mov_b32 s0, -1
	s_mov_b32 s19, exec_lo
	s_waitcnt lgkmcnt(0)
	global_load_dword v1, v1, s[22:23]
	s_waitcnt vmcnt(0)
	v_ashrrev_i32_e32 v2, 31, v1
	v_lshlrev_b64 v[2:3], 2, v[1:2]
	v_add_co_u32 v6, vcc_lo, s14, v2
	v_add_co_ci_u32_e64 v7, null, s15, v3, vcc_lo
	global_load_dword v6, v[6:7], off
	s_waitcnt vmcnt(0)
	v_cmpx_ne_u32_e32 -1, v6
	s_cbranch_execz .LBB8_134
; %bb.9:
	v_add_co_u32 v10, vcc_lo, s8, v2
	v_add_co_ci_u32_e64 v11, null, s9, v3, vcc_lo
	s_load_dword s18, s[4:5], 0x28
	s_mov_b32 s3, 0
	s_mov_b32 s5, exec_lo
	global_load_dwordx2 v[10:11], v[10:11], off
	s_waitcnt vmcnt(0)
	v_subrev_nc_u32_e32 v10, s24, v10
	v_subrev_nc_u32_e32 v26, s24, v11
	v_cmpx_lt_i32_e64 v10, v6
	s_cbranch_execz .LBB8_75
; %bb.10:
	v_add_nc_u32_e32 v12, v10, v0
	s_waitcnt lgkmcnt(0)
	v_mad_u64_u32 v[14:15], null, s18, v10, v[0:1]
	s_cmp_gt_i32 s18, 0
	v_cmp_gt_i32_e64 s0, s18, v0
	v_ashrrev_i32_e32 v13, 31, v12
	v_cmp_le_i32_e64 s1, s18, v0
	v_cmp_lt_i32_e64 s2, v12, v26
	s_cselect_b32 s22, -1, 0
	v_mul_lo_u32 v28, s18, v14
	v_lshlrev_b64 v[15:16], 2, v[12:13]
	s_cmp_lg_u32 s26, 0
	s_mov_b32 s28, 0
	s_cselect_b32 s23, -1, 0
	s_add_i32 s27, s27, 1
	s_mul_i32 s29, s18, s18
	v_add_co_u32 v13, vcc_lo, s10, v15
	v_add_co_ci_u32_e64 v14, null, s11, v16, vcc_lo
	v_add_nc_u32_e32 v29, 1, v28
	s_add_i32 s30, s18, 1
	s_lshl_b32 s31, s18, 5
	s_add_i32 s33, s18, -1
	s_mov_b32 s34, 0
                                        ; implicit-def: $sgpr35
                                        ; implicit-def: $sgpr36
	s_branch .LBB8_13
.LBB8_11:                               ;   in Loop: Header=BB8_13 Depth=1
	s_or_b32 exec_lo, exec_lo, s4
	s_andn2_b32 s4, s36, exec_lo
	s_and_b32 s28, s28, exec_lo
	s_or_b32 s36, s4, s28
.LBB8_12:                               ;   in Loop: Header=BB8_13 Depth=1
	s_or_b32 exec_lo, exec_lo, s37
	v_add_nc_u32_e32 v10, 1, v10
	s_xor_b32 s3, s3, -1
	v_add_nc_u32_e32 v29, s29, v29
	v_add_nc_u32_e32 v28, s29, v28
	s_mov_b32 s28, s36
	v_cmp_ge_i32_e32 vcc_lo, v10, v6
	s_or_b32 s3, s3, vcc_lo
	s_and_b32 s3, exec_lo, s3
	s_or_b32 s34, s3, s34
	s_andn2_b32 s3, s35, exec_lo
	s_and_b32 s4, s36, exec_lo
	s_or_b32 s35, s3, s4
	s_andn2_b32 exec_lo, exec_lo, s34
	s_cbranch_execz .LBB8_74
.LBB8_13:                               ; =>This Loop Header: Depth=1
                                        ;     Child Loop BB8_16 Depth 2
                                        ;     Child Loop BB8_21 Depth 2
                                        ;       Child Loop BB8_26 Depth 3
                                        ;         Child Loop BB8_35 Depth 4
                                        ;     Child Loop BB8_48 Depth 2
                                        ;       Child Loop BB8_53 Depth 3
                                        ;       Child Loop BB8_60 Depth 3
                                        ;         Child Loop BB8_62 Depth 4
                                        ;           Child Loop BB8_64 Depth 5
	v_ashrrev_i32_e32 v11, 31, v10
	s_or_b32 s36, s36, exec_lo
	v_lshlrev_b64 v[15:16], 2, v[10:11]
	v_add_co_u32 v15, vcc_lo, s10, v15
	v_add_co_ci_u32_e64 v16, null, s11, v16, vcc_lo
	s_waitcnt lgkmcnt(0)
	global_load_dword v7, v[15:16], off
	s_waitcnt vmcnt(0)
	v_subrev_nc_u32_e32 v15, s24, v7
	v_ashrrev_i32_e32 v16, 31, v15
	v_lshlrev_b64 v[15:16], 2, v[15:16]
	v_add_co_u32 v17, vcc_lo, s14, v15
	v_add_co_ci_u32_e64 v18, null, s15, v16, vcc_lo
	global_load_dword v31, v[17:18], off
	s_waitcnt vmcnt(0)
	v_cmp_ne_u32_e64 s3, -1, v31
	s_and_saveexec_b32 s37, s3
	s_cbranch_execz .LBB8_12
; %bb.14:                               ;   in Loop: Header=BB8_13 Depth=1
	v_add_co_u32 v17, vcc_lo, s8, v15
	v_add_co_ci_u32_e64 v18, null, s9, v16, vcc_lo
	v_add_co_u32 v15, vcc_lo, s20, v15
	v_add_co_ci_u32_e64 v16, null, s21, v16, vcc_lo
	global_load_dword v32, v[17:18], off offset:4
	global_load_dword v7, v[15:16], off glc dlc
	s_mov_b32 s4, exec_lo
	s_waitcnt vmcnt(0)
	v_cmpx_eq_u32_e32 0, v7
	s_cbranch_execz .LBB8_17
; %bb.15:                               ;   in Loop: Header=BB8_13 Depth=1
	s_mov_b32 s38, 0
.LBB8_16:                               ;   Parent Loop BB8_13 Depth=1
                                        ; =>  This Inner Loop Header: Depth=2
	global_load_dword v7, v[15:16], off glc dlc
	s_waitcnt vmcnt(0)
	v_cmp_ne_u32_e32 vcc_lo, 0, v7
	s_or_b32 s38, vcc_lo, s38
	s_andn2_b32 exec_lo, exec_lo, s38
	s_cbranch_execnz .LBB8_16
.LBB8_17:                               ;   in Loop: Header=BB8_13 Depth=1
	s_or_b32 exec_lo, exec_lo, s4
	v_mul_lo_u32 v30, v10, s18
	s_andn2_b32 vcc_lo, exec_lo, s22
	buffer_gl1_inv
	buffer_gl0_inv
	s_cbranch_vccnz .LBB8_44
; %bb.18:                               ;   in Loop: Header=BB8_13 Depth=1
	v_mul_lo_u32 v33, v31, s18
	v_mad_u64_u32 v[15:16], null, s29, v31, 1
	v_mov_b32_e32 v7, 0
	v_mov_b32_e32 v34, v29
	s_mov_b32 s38, 0
	s_mov_b32 s39, s33
	s_branch .LBB8_21
.LBB8_19:                               ;   in Loop: Header=BB8_21 Depth=2
	s_or_b32 exec_lo, exec_lo, s41
	v_mov_b32_e32 v7, v35
.LBB8_20:                               ;   in Loop: Header=BB8_21 Depth=2
	s_or_b32 exec_lo, exec_lo, s40
	v_cmp_eq_u32_e32 vcc_lo, s18, v7
	v_add_nc_u32_e32 v15, s30, v15
	v_add_nc_u32_e32 v34, 1, v34
	s_add_i32 s39, s39, -1
	s_or_b32 s38, vcc_lo, s38
	s_andn2_b32 exec_lo, exec_lo, s38
	s_cbranch_execz .LBB8_43
.LBB8_21:                               ;   Parent Loop BB8_13 Depth=1
                                        ; =>  This Loop Header: Depth=2
                                        ;       Child Loop BB8_26 Depth 3
                                        ;         Child Loop BB8_35 Depth 4
	v_add_nc_u32_e32 v35, 1, v7
	s_and_saveexec_b32 s4, s1
	s_xor_b32 s4, exec_lo, s4
; %bb.22:                               ;   in Loop: Header=BB8_21 Depth=2
	v_add_nc_u32_e32 v7, 1, v7
                                        ; implicit-def: $vgpr35
; %bb.23:                               ;   in Loop: Header=BB8_21 Depth=2
	s_andn2_saveexec_b32 s40, s4
	s_cbranch_execz .LBB8_20
; %bb.24:                               ;   in Loop: Header=BB8_21 Depth=2
	v_add_nc_u32_e32 v11, v7, v33
	v_cmp_gt_i32_e64 s4, s18, v35
	v_mov_b32_e32 v37, v34
	s_mov_b32 s41, 0
	v_mad_u64_u32 v[16:17], null, v11, s18, v[7:8]
	v_add_nc_u32_e32 v11, v7, v30
	v_mul_lo_u32 v36, v11, s18
	v_ashrrev_i32_e32 v17, 31, v16
	v_mov_b32_e32 v11, v0
	v_lshlrev_b64 v[16:17], 3, v[16:17]
	v_add_co_u32 v16, vcc_lo, s12, v16
	v_add_co_ci_u32_e64 v17, null, s13, v17, vcc_lo
	global_load_dwordx2 v[16:17], v[16:17], off
	s_branch .LBB8_26
.LBB8_25:                               ;   in Loop: Header=BB8_26 Depth=3
	s_or_b32 exec_lo, exec_lo, s42
	v_add_nc_u32_e32 v11, 32, v11
	v_add_nc_u32_e32 v37, s31, v37
	v_cmp_le_i32_e32 vcc_lo, s18, v11
	s_or_b32 s41, vcc_lo, s41
	s_andn2_b32 exec_lo, exec_lo, s41
	s_cbranch_execz .LBB8_19
.LBB8_26:                               ;   Parent Loop BB8_13 Depth=1
                                        ;     Parent Loop BB8_21 Depth=2
                                        ; =>    This Loop Header: Depth=3
                                        ;         Child Loop BB8_35 Depth 4
	v_add_nc_u32_e32 v20, v11, v36
	s_and_b32 vcc_lo, exec_lo, s23
	s_cbranch_vccz .LBB8_41
; %bb.27:                               ;   in Loop: Header=BB8_26 Depth=3
	v_add_nc_u32_e32 v18, v11, v36
	v_add_nc_u32_e32 v21, v11, v30
	s_cbranch_execnz .LBB8_29
.LBB8_28:                               ;   in Loop: Header=BB8_26 Depth=3
	v_mad_u64_u32 v[18:19], null, v21, s18, v[7:8]
.LBB8_29:                               ;   in Loop: Header=BB8_26 Depth=3
	v_ashrrev_i32_e32 v19, 31, v18
	v_lshlrev_b64 v[18:19], 3, v[18:19]
	v_add_co_u32 v18, vcc_lo, s12, v18
	v_add_co_ci_u32_e64 v19, null, s13, v19, vcc_lo
	s_and_b32 vcc_lo, exec_lo, s23
	global_load_dwordx2 v[18:19], v[18:19], off
	s_cbranch_vccz .LBB8_42
; %bb.30:                               ;   in Loop: Header=BB8_26 Depth=3
	s_cbranch_execnz .LBB8_32
.LBB8_31:                               ;   in Loop: Header=BB8_26 Depth=3
	v_mad_u64_u32 v[20:21], null, v21, s18, v[7:8]
.LBB8_32:                               ;   in Loop: Header=BB8_26 Depth=3
	s_waitcnt vmcnt(0)
	v_div_scale_f64 v[21:22], null, v[16:17], v[16:17], v[18:19]
	v_rcp_f64_e32 v[23:24], v[21:22]
	v_fma_f64 v[38:39], -v[21:22], v[23:24], 1.0
	v_fma_f64 v[23:24], v[23:24], v[38:39], v[23:24]
	v_fma_f64 v[38:39], -v[21:22], v[23:24], 1.0
	v_fma_f64 v[23:24], v[23:24], v[38:39], v[23:24]
	v_div_scale_f64 v[38:39], vcc_lo, v[18:19], v[16:17], v[18:19]
	v_mul_f64 v[40:41], v[38:39], v[23:24]
	v_fma_f64 v[21:22], -v[21:22], v[40:41], v[38:39]
	v_div_fmas_f64 v[21:22], v[21:22], v[23:24], v[40:41]
	v_div_fixup_f64 v[18:19], v[21:22], v[16:17], v[18:19]
	v_ashrrev_i32_e32 v21, 31, v20
	v_lshlrev_b64 v[20:21], 3, v[20:21]
	v_add_co_u32 v20, vcc_lo, s12, v20
	v_add_co_ci_u32_e64 v21, null, s13, v21, vcc_lo
	global_store_dwordx2 v[20:21], v[18:19], off
	s_and_saveexec_b32 s42, s4
	s_cbranch_execz .LBB8_25
; %bb.33:                               ;   in Loop: Header=BB8_26 Depth=3
	v_mov_b32_e32 v38, v37
	v_mov_b32_e32 v39, v15
	;; [unrolled: 1-line block ×3, first 2 shown]
	s_mov_b32 s43, s39
	s_branch .LBB8_35
.LBB8_34:                               ;   in Loop: Header=BB8_35 Depth=4
	s_waitcnt vmcnt(0)
	v_fma_f64 v[20:21], -v[18:19], v[20:21], v[22:23]
	v_ashrrev_i32_e32 v25, 31, v24
	v_add_nc_u32_e32 v40, 1, v40
	v_add_nc_u32_e32 v39, 1, v39
	;; [unrolled: 1-line block ×3, first 2 shown]
	s_add_i32 s43, s43, -1
	v_lshlrev_b64 v[22:23], 3, v[24:25]
	s_cmp_eq_u32 s43, 0
	v_add_co_u32 v22, vcc_lo, s12, v22
	v_add_co_ci_u32_e64 v23, null, s13, v23, vcc_lo
	global_store_dwordx2 v[22:23], v[20:21], off
	s_cbranch_scc1 .LBB8_25
.LBB8_35:                               ;   Parent Loop BB8_13 Depth=1
                                        ;     Parent Loop BB8_21 Depth=2
                                        ;       Parent Loop BB8_26 Depth=3
                                        ; =>      This Inner Loop Header: Depth=4
	v_mov_b32_e32 v20, v39
	s_andn2_b32 vcc_lo, exec_lo, s23
	s_cbranch_vccnz .LBB8_37
; %bb.36:                               ;   in Loop: Header=BB8_35 Depth=4
	v_add_nc_u32_e32 v20, v40, v33
	v_mad_u64_u32 v[20:21], null, v20, s18, v[7:8]
.LBB8_37:                               ;   in Loop: Header=BB8_35 Depth=4
	v_ashrrev_i32_e32 v21, 31, v20
	v_add_nc_u32_e32 v25, v40, v30
	v_mov_b32_e32 v22, v38
	v_lshlrev_b64 v[20:21], 3, v[20:21]
	v_add_co_u32 v20, vcc_lo, s12, v20
	v_add_co_ci_u32_e64 v21, null, s13, v21, vcc_lo
	s_andn2_b32 vcc_lo, exec_lo, s23
	global_load_dwordx2 v[20:21], v[20:21], off
	s_cbranch_vccnz .LBB8_39
; %bb.38:                               ;   in Loop: Header=BB8_35 Depth=4
	v_mad_u64_u32 v[22:23], null, v25, s18, v[11:12]
.LBB8_39:                               ;   in Loop: Header=BB8_35 Depth=4
	v_ashrrev_i32_e32 v23, 31, v22
	v_mov_b32_e32 v24, v38
	v_lshlrev_b64 v[22:23], 3, v[22:23]
	v_add_co_u32 v22, vcc_lo, s12, v22
	v_add_co_ci_u32_e64 v23, null, s13, v23, vcc_lo
	s_andn2_b32 vcc_lo, exec_lo, s23
	global_load_dwordx2 v[22:23], v[22:23], off
	s_cbranch_vccnz .LBB8_34
; %bb.40:                               ;   in Loop: Header=BB8_35 Depth=4
	v_mad_u64_u32 v[24:25], null, v25, s18, v[11:12]
	s_branch .LBB8_34
.LBB8_41:                               ;   in Loop: Header=BB8_26 Depth=3
                                        ; implicit-def: $vgpr18
	v_add_nc_u32_e32 v21, v11, v30
	s_branch .LBB8_28
.LBB8_42:                               ;   in Loop: Header=BB8_26 Depth=3
                                        ; implicit-def: $vgpr20
	s_branch .LBB8_31
.LBB8_43:                               ;   in Loop: Header=BB8_13 Depth=1
	s_or_b32 exec_lo, exec_lo, s38
.LBB8_44:                               ;   in Loop: Header=BB8_13 Depth=1
	v_subrev_nc_u32_e32 v11, s24, v32
	v_add_nc_u32_e32 v15, 1, v31
	s_mov_b32 s4, exec_lo
	v_cmpx_lt_i32_e64 v15, v11
	s_cbranch_execz .LBB8_11
; %bb.45:                               ;   in Loop: Header=BB8_13 Depth=1
	v_mul_lo_u32 v22, s29, v15
	s_mov_b32 s38, 0
	s_branch .LBB8_48
.LBB8_46:                               ;   in Loop: Header=BB8_48 Depth=2
	s_or_b32 exec_lo, exec_lo, s39
.LBB8_47:                               ;   in Loop: Header=BB8_48 Depth=2
	v_add_nc_u32_e32 v15, 1, v15
	v_add_nc_u32_e32 v22, s29, v22
	v_cmp_ge_i32_e32 vcc_lo, v15, v11
	s_or_b32 s38, vcc_lo, s38
	s_andn2_b32 exec_lo, exec_lo, s38
	s_cbranch_execz .LBB8_11
.LBB8_48:                               ;   Parent Loop BB8_13 Depth=1
                                        ; =>  This Loop Header: Depth=2
                                        ;       Child Loop BB8_53 Depth 3
                                        ;       Child Loop BB8_60 Depth 3
                                        ;         Child Loop BB8_62 Depth 4
                                        ;           Child Loop BB8_64 Depth 5
	v_ashrrev_i32_e32 v16, 31, v15
	v_lshlrev_b64 v[16:17], 2, v[15:16]
	v_add_co_u32 v16, vcc_lo, s10, v16
	v_add_co_ci_u32_e64 v17, null, s11, v17, vcc_lo
	s_waitcnt lgkmcnt(0)
	global_load_dword v7, v[16:17], off
	v_mov_b32_e32 v17, s27
	s_and_saveexec_b32 s39, s2
	s_cbranch_execz .LBB8_50
; %bb.49:                               ;   in Loop: Header=BB8_48 Depth=2
	global_load_dword v16, v[13:14], off
	s_waitcnt vmcnt(0)
	v_subrev_nc_u32_e32 v17, s24, v16
.LBB8_50:                               ;   in Loop: Header=BB8_48 Depth=2
	s_or_b32 exec_lo, exec_lo, s39
	s_waitcnt vmcnt(0)
	v_subrev_nc_u32_e32 v7, s24, v7
	v_mov_b32_e32 v18, v12
	s_mov_b32 s39, exec_lo
	v_cmpx_lt_i32_e64 v17, v7
	s_cbranch_execz .LBB8_56
; %bb.51:                               ;   in Loop: Header=BB8_48 Depth=2
	v_mov_b32_e32 v16, v12
	s_mov_b32 s40, 0
	s_branch .LBB8_53
	.p2align	6
.LBB8_52:                               ;   in Loop: Header=BB8_53 Depth=3
	s_or_b32 exec_lo, exec_lo, s41
	v_cmp_ge_i32_e32 vcc_lo, v17, v7
	v_mov_b32_e32 v16, v18
	s_or_b32 s40, vcc_lo, s40
	s_andn2_b32 exec_lo, exec_lo, s40
	s_cbranch_execz .LBB8_55
.LBB8_53:                               ;   Parent Loop BB8_13 Depth=1
                                        ;     Parent Loop BB8_48 Depth=2
                                        ; =>    This Inner Loop Header: Depth=3
	v_add_nc_u32_e32 v18, 32, v16
	v_mov_b32_e32 v17, s27
	s_mov_b32 s41, exec_lo
	v_cmpx_lt_i32_e64 v18, v26
	s_cbranch_execz .LBB8_52
; %bb.54:                               ;   in Loop: Header=BB8_53 Depth=3
	v_ashrrev_i32_e32 v17, 31, v16
	v_lshlrev_b64 v[16:17], 2, v[16:17]
	v_add_co_u32 v16, vcc_lo, s10, v16
	v_add_co_ci_u32_e64 v17, null, s11, v17, vcc_lo
	global_load_dword v16, v[16:17], off offset:128
	s_waitcnt vmcnt(0)
	v_subrev_nc_u32_e32 v17, s24, v16
	s_branch .LBB8_52
.LBB8_55:                               ;   in Loop: Header=BB8_48 Depth=2
	s_or_b32 exec_lo, exec_lo, s40
.LBB8_56:                               ;   in Loop: Header=BB8_48 Depth=2
	s_or_b32 exec_lo, exec_lo, s39
	v_cmp_eq_u32_e32 vcc_lo, v17, v7
	s_cbranch_vccz .LBB8_47
; %bb.57:                               ;   in Loop: Header=BB8_48 Depth=2
	s_ff1_i32_b32 s39, vcc_lo
	s_lshl_b32 s39, s39, 2
	v_mov_b32_e32 v7, s39
	ds_bpermute_b32 v7, v7, v18
	s_and_saveexec_b32 s39, s0
	s_cbranch_execz .LBB8_46
; %bb.58:                               ;   in Loop: Header=BB8_48 Depth=2
	v_mul_lo_u32 v23, v15, s18
	s_waitcnt lgkmcnt(0)
	v_mul_lo_u32 v24, v7, s18
	v_mov_b32_e32 v25, v28
	v_mov_b32_e32 v7, v0
	s_mov_b32 s40, 0
	s_branch .LBB8_60
.LBB8_59:                               ;   in Loop: Header=BB8_60 Depth=3
	v_add_nc_u32_e32 v7, 32, v7
	v_add_nc_u32_e32 v25, s31, v25
	v_cmp_le_i32_e32 vcc_lo, s18, v7
	s_or_b32 s40, vcc_lo, s40
	s_andn2_b32 exec_lo, exec_lo, s40
	s_cbranch_execz .LBB8_46
.LBB8_60:                               ;   Parent Loop BB8_13 Depth=1
                                        ;     Parent Loop BB8_48 Depth=2
                                        ; =>    This Loop Header: Depth=3
                                        ;         Child Loop BB8_62 Depth 4
                                        ;           Child Loop BB8_64 Depth 5
	v_add_nc_u32_e32 v16, v7, v24
	v_mov_b32_e32 v32, v22
	s_mov_b32 s41, 0
	v_mul_lo_u32 v31, v16, s18
	s_branch .LBB8_62
.LBB8_61:                               ;   in Loop: Header=BB8_62 Depth=4
	v_ashrrev_i32_e32 v19, 31, v18
	v_add_nc_u32_e32 v32, 1, v32
	s_add_i32 s41, s41, 1
	s_cmp_eq_u32 s41, s18
	v_lshlrev_b64 v[18:19], 3, v[18:19]
	v_add_co_u32 v18, vcc_lo, s12, v18
	v_add_co_ci_u32_e64 v19, null, s13, v19, vcc_lo
	global_load_dwordx2 v[20:21], v[18:19], off
	s_waitcnt vmcnt(0)
	v_add_f64 v[16:17], v[20:21], -v[16:17]
	global_store_dwordx2 v[18:19], v[16:17], off
	s_cbranch_scc1 .LBB8_59
.LBB8_62:                               ;   Parent Loop BB8_13 Depth=1
                                        ;     Parent Loop BB8_48 Depth=2
                                        ;       Parent Loop BB8_60 Depth=3
                                        ; =>      This Loop Header: Depth=4
                                        ;           Child Loop BB8_64 Depth 5
	v_add_nc_u32_e32 v16, s41, v23
	v_mov_b32_e32 v34, v32
	s_mov_b32 s42, 0
	v_mul_lo_u32 v33, v16, s18
	v_mov_b32_e32 v16, 0
	v_mov_b32_e32 v17, 0
	s_inst_prefetch 0x1
	s_branch .LBB8_64
	.p2align	6
.LBB8_63:                               ;   in Loop: Header=BB8_64 Depth=5
	v_ashrrev_i32_e32 v21, 31, v20
	v_add_nc_u32_e32 v34, s18, v34
	s_add_i32 s42, s42, 1
	s_cmp_eq_u32 s18, s42
	v_lshlrev_b64 v[20:21], 3, v[20:21]
	v_add_co_u32 v20, vcc_lo, s12, v20
	v_add_co_ci_u32_e64 v21, null, s13, v21, vcc_lo
	global_load_dwordx2 v[20:21], v[20:21], off
	s_waitcnt vmcnt(0)
	v_fma_f64 v[16:17], v[18:19], v[20:21], v[16:17]
	s_cbranch_scc1 .LBB8_70
.LBB8_64:                               ;   Parent Loop BB8_13 Depth=1
                                        ;     Parent Loop BB8_48 Depth=2
                                        ;       Parent Loop BB8_60 Depth=3
                                        ;         Parent Loop BB8_62 Depth=4
                                        ; =>        This Inner Loop Header: Depth=5
	s_and_b32 vcc_lo, exec_lo, s23
	s_cbranch_vccz .LBB8_69
; %bb.65:                               ;   in Loop: Header=BB8_64 Depth=5
	v_add_nc_u32_e32 v18, s42, v30
	v_mad_u64_u32 v[18:19], null, v18, s18, v[7:8]
	s_cbranch_execnz .LBB8_67
.LBB8_66:                               ;   in Loop: Header=BB8_64 Depth=5
	v_add_nc_u32_e32 v18, s42, v25
.LBB8_67:                               ;   in Loop: Header=BB8_64 Depth=5
	v_ashrrev_i32_e32 v19, 31, v18
	v_mov_b32_e32 v20, v34
	v_lshlrev_b64 v[18:19], 3, v[18:19]
	v_add_co_u32 v18, vcc_lo, s12, v18
	v_add_co_ci_u32_e64 v19, null, s13, v19, vcc_lo
	s_andn2_b32 vcc_lo, exec_lo, s23
	global_load_dwordx2 v[18:19], v[18:19], off
	s_cbranch_vccnz .LBB8_63
; %bb.68:                               ;   in Loop: Header=BB8_64 Depth=5
	v_add_nc_u32_e32 v20, s42, v33
	s_branch .LBB8_63
.LBB8_69:                               ;   in Loop: Header=BB8_64 Depth=5
                                        ; implicit-def: $vgpr18
	s_branch .LBB8_66
.LBB8_70:                               ;   in Loop: Header=BB8_62 Depth=4
	s_inst_prefetch 0x2
	s_and_b32 vcc_lo, exec_lo, s23
	s_cbranch_vccz .LBB8_72
; %bb.71:                               ;   in Loop: Header=BB8_62 Depth=4
	v_add_nc_u32_e32 v18, s41, v24
	v_mad_u64_u32 v[18:19], null, v18, s18, v[7:8]
	s_cbranch_execnz .LBB8_61
	s_branch .LBB8_73
.LBB8_72:                               ;   in Loop: Header=BB8_62 Depth=4
                                        ; implicit-def: $vgpr18
.LBB8_73:                               ;   in Loop: Header=BB8_62 Depth=4
	v_add_nc_u32_e32 v18, s41, v31
	s_branch .LBB8_61
.LBB8_74:
	s_or_b32 exec_lo, exec_lo, s34
	s_and_b32 s3, s35, exec_lo
.LBB8_75:
	s_or_b32 exec_lo, exec_lo, s5
	s_waitcnt lgkmcnt(0)
	v_ashrrev_i32_e32 v7, 31, v6
	s_cmp_gt_i32 s18, 0
	s_mov_b32 s8, 0
	s_cselect_b32 s4, -1, 0
	v_lshlrev_b64 v[10:11], 2, v[6:7]
	v_add_co_u32 v10, vcc_lo, s10, v10
	v_add_co_ci_u32_e64 v11, null, s11, v11, vcc_lo
	global_load_dword v7, v[10:11], off
	s_waitcnt vmcnt(0)
	v_subrev_nc_u32_e32 v7, s24, v7
	v_cmp_eq_u32_e32 vcc_lo, v7, v1
	s_and_b32 s0, s4, vcc_lo
	s_and_saveexec_b32 s5, s0
	s_cbranch_execz .LBB8_109
; %bb.76:
	v_cvt_f64_f32_e32 v[13:14], v27
	v_mul_lo_u32 v23, v6, s18
	s_cmp_eq_u64 s[16:17], 8
	s_mul_i32 s1, s18, s18
	s_cselect_b32 vcc_lo, -1, 0
	s_cmp_lg_u32 s26, 0
	v_mad_u64_u32 v[10:11], null, v6, s1, 1
	s_cselect_b32 s9, -1, 0
	v_add_nc_u32_e32 v12, v23, v0
	s_add_i32 s2, s18, 1
	v_cmp_eq_u32_e64 s0, 0, v0
	v_mov_b32_e32 v7, 0
	s_lshl_b32 s10, s18, 5
	v_mad_u64_u32 v[11:12], null, s18, v12, s[2:3]
	s_add_i32 s11, s18, -1
	s_mov_b32 s15, s3
                                        ; implicit-def: $sgpr14
	v_cndmask_b32_e32 v9, v14, v9, vcc_lo
	v_cndmask_b32_e32 v8, v13, v8, vcc_lo
	s_branch .LBB8_78
.LBB8_77:                               ;   in Loop: Header=BB8_78 Depth=1
	s_or_b32 exec_lo, exec_lo, s1
	v_cmp_eq_u32_e32 vcc_lo, s18, v25
	s_add_i32 s11, s11, -1
	v_add_nc_u32_e32 v10, s2, v10
	v_add_nc_u32_e32 v11, s2, v11
	v_mov_b32_e32 v7, v25
	s_or_b32 s8, vcc_lo, s8
	s_andn2_b32 s1, s14, exec_lo
	s_and_b32 s14, s15, exec_lo
	s_or_b32 s14, s1, s14
	s_andn2_b32 exec_lo, exec_lo, s8
	s_cbranch_execz .LBB8_108
.LBB8_78:                               ; =>This Loop Header: Depth=1
                                        ;     Child Loop BB8_88 Depth 2
                                        ;       Child Loop BB8_97 Depth 3
	v_add_nc_u32_e32 v12, v7, v23
	s_mov_b32 s16, 0
	s_mov_b32 s1, 0
	s_mov_b32 s17, -1
                                        ; implicit-def: $vgpr14_vgpr15
	v_mul_lo_u32 v24, v12, s18
	v_add_nc_u32_e32 v12, v24, v7
	v_ashrrev_i32_e32 v13, 31, v12
	v_lshlrev_b64 v[12:13], 3, v[12:13]
	v_add_co_u32 v16, vcc_lo, s12, v12
	v_add_co_ci_u32_e64 v17, null, s13, v13, vcc_lo
	s_andn2_b32 vcc_lo, exec_lo, s25
	global_load_dwordx2 v[12:13], v[16:17], off
	s_cbranch_vccnz .LBB8_82
; %bb.79:                               ;   in Loop: Header=BB8_78 Depth=1
	s_waitcnt vmcnt(0)
	v_cmp_ge_f64_e64 vcc_lo, v[8:9], |v[12:13]|
	v_cndmask_b32_e32 v15, v13, v5, vcc_lo
	v_cndmask_b32_e32 v14, v12, v4, vcc_lo
	s_and_saveexec_b32 s1, s0
	s_cbranch_execz .LBB8_81
; %bb.80:                               ;   in Loop: Header=BB8_78 Depth=1
	global_store_dwordx2 v[16:17], v[14:15], off
.LBB8_81:                               ;   in Loop: Header=BB8_78 Depth=1
	s_or_b32 exec_lo, exec_lo, s1
	s_mov_b32 s17, 0
	s_mov_b32 s1, -1
.LBB8_82:                               ;   in Loop: Header=BB8_78 Depth=1
	s_andn2_b32 vcc_lo, exec_lo, s17
	s_cbranch_vccnz .LBB8_84
; %bb.83:                               ;   in Loop: Header=BB8_78 Depth=1
	s_waitcnt vmcnt(0)
	v_cmp_neq_f64_e32 vcc_lo, 0, v[12:13]
	s_andn2_b32 s1, s1, exec_lo
	s_mov_b32 s16, -1
	s_and_b32 s17, vcc_lo, exec_lo
	s_or_b32 s1, s1, s17
                                        ; implicit-def: $vgpr25
	s_and_saveexec_b32 s17, s1
	s_xor_b32 s17, exec_lo, s17
	s_cbranch_execnz .LBB8_85
	s_branch .LBB8_106
.LBB8_84:                               ;   in Loop: Header=BB8_78 Depth=1
	s_waitcnt vmcnt(0)
	v_mov_b32_e32 v12, v14
	v_mov_b32_e32 v13, v15
                                        ; implicit-def: $vgpr25
	s_and_saveexec_b32 s17, s1
	s_xor_b32 s17, exec_lo, s17
	s_cbranch_execz .LBB8_106
.LBB8_85:                               ;   in Loop: Header=BB8_78 Depth=1
	v_add_nc_u32_e32 v25, 1, v7
	s_mov_b32 s22, exec_lo
	v_add_nc_u32_e32 v14, v25, v0
	v_cmpx_gt_i32_e64 s18, v14
	s_cbranch_execz .LBB8_105
; %bb.86:                               ;   in Loop: Header=BB8_78 Depth=1
	v_cmp_gt_i32_e64 s1, s18, v25
	v_mov_b32_e32 v27, v11
	s_mov_b32 s23, 0
	s_branch .LBB8_88
.LBB8_87:                               ;   in Loop: Header=BB8_88 Depth=2
	s_or_b32 exec_lo, exec_lo, s27
	v_add_nc_u32_e32 v14, 32, v14
	v_add_nc_u32_e32 v27, s10, v27
	v_cmp_le_i32_e32 vcc_lo, s18, v14
	s_or_b32 s23, vcc_lo, s23
	s_andn2_b32 exec_lo, exec_lo, s23
	s_cbranch_execz .LBB8_105
.LBB8_88:                               ;   Parent Loop BB8_78 Depth=1
                                        ; =>  This Loop Header: Depth=2
                                        ;       Child Loop BB8_97 Depth 3
	v_add_nc_u32_e32 v17, v14, v24
	s_and_b32 vcc_lo, exec_lo, s9
	s_cbranch_vccz .LBB8_103
; %bb.89:                               ;   in Loop: Header=BB8_88 Depth=2
	v_add_nc_u32_e32 v15, v14, v24
	s_cbranch_execnz .LBB8_91
.LBB8_90:                               ;   in Loop: Header=BB8_88 Depth=2
	v_add_nc_u32_e32 v15, v14, v23
	v_mad_u64_u32 v[15:16], null, v15, s18, v[7:8]
.LBB8_91:                               ;   in Loop: Header=BB8_88 Depth=2
	v_ashrrev_i32_e32 v16, 31, v15
	v_lshlrev_b64 v[15:16], 3, v[15:16]
	v_add_co_u32 v15, vcc_lo, s12, v15
	v_add_co_ci_u32_e64 v16, null, s13, v16, vcc_lo
	s_and_b32 vcc_lo, exec_lo, s9
	global_load_dwordx2 v[15:16], v[15:16], off
	s_cbranch_vccz .LBB8_104
; %bb.92:                               ;   in Loop: Header=BB8_88 Depth=2
	s_cbranch_execnz .LBB8_94
.LBB8_93:                               ;   in Loop: Header=BB8_88 Depth=2
	v_add_nc_u32_e32 v17, v14, v23
	v_mad_u64_u32 v[17:18], null, v17, s18, v[7:8]
.LBB8_94:                               ;   in Loop: Header=BB8_88 Depth=2
	s_waitcnt vmcnt(0)
	v_div_scale_f64 v[18:19], null, v[12:13], v[12:13], v[15:16]
	v_rcp_f64_e32 v[20:21], v[18:19]
	v_fma_f64 v[28:29], -v[18:19], v[20:21], 1.0
	v_fma_f64 v[20:21], v[20:21], v[28:29], v[20:21]
	v_fma_f64 v[28:29], -v[18:19], v[20:21], 1.0
	v_fma_f64 v[20:21], v[20:21], v[28:29], v[20:21]
	v_div_scale_f64 v[28:29], vcc_lo, v[15:16], v[12:13], v[15:16]
	v_mul_f64 v[30:31], v[28:29], v[20:21]
	v_fma_f64 v[18:19], -v[18:19], v[30:31], v[28:29]
	v_div_fmas_f64 v[18:19], v[18:19], v[20:21], v[30:31]
	v_div_fixup_f64 v[15:16], v[18:19], v[12:13], v[15:16]
	v_ashrrev_i32_e32 v18, 31, v17
	v_lshlrev_b64 v[17:18], 3, v[17:18]
	v_add_co_u32 v17, vcc_lo, s12, v17
	v_add_co_ci_u32_e64 v18, null, s13, v18, vcc_lo
	global_store_dwordx2 v[17:18], v[15:16], off
	s_and_saveexec_b32 s27, s1
	s_cbranch_execz .LBB8_87
; %bb.95:                               ;   in Loop: Header=BB8_88 Depth=2
	v_mov_b32_e32 v28, v27
	v_mov_b32_e32 v29, v10
	v_mov_b32_e32 v30, v25
	s_mov_b32 s28, s11
	s_branch .LBB8_97
.LBB8_96:                               ;   in Loop: Header=BB8_97 Depth=3
	s_waitcnt vmcnt(0)
	v_fma_f64 v[17:18], -v[15:16], v[17:18], v[19:20]
	v_ashrrev_i32_e32 v22, 31, v21
	v_add_nc_u32_e32 v30, 1, v30
	v_add_nc_u32_e32 v29, 1, v29
	;; [unrolled: 1-line block ×3, first 2 shown]
	s_add_i32 s28, s28, -1
	v_lshlrev_b64 v[19:20], 3, v[21:22]
	s_cmp_eq_u32 s28, 0
	v_add_co_u32 v19, vcc_lo, s12, v19
	v_add_co_ci_u32_e64 v20, null, s13, v20, vcc_lo
	global_store_dwordx2 v[19:20], v[17:18], off
	s_cbranch_scc1 .LBB8_87
.LBB8_97:                               ;   Parent Loop BB8_78 Depth=1
                                        ;     Parent Loop BB8_88 Depth=2
                                        ; =>    This Inner Loop Header: Depth=3
	v_add_nc_u32_e32 v22, v30, v23
	v_mov_b32_e32 v17, v29
	s_andn2_b32 vcc_lo, exec_lo, s9
	s_cbranch_vccnz .LBB8_99
; %bb.98:                               ;   in Loop: Header=BB8_97 Depth=3
	v_mad_u64_u32 v[17:18], null, v22, s18, v[7:8]
.LBB8_99:                               ;   in Loop: Header=BB8_97 Depth=3
	v_ashrrev_i32_e32 v18, 31, v17
	v_mov_b32_e32 v19, v28
	v_lshlrev_b64 v[17:18], 3, v[17:18]
	v_add_co_u32 v17, vcc_lo, s12, v17
	v_add_co_ci_u32_e64 v18, null, s13, v18, vcc_lo
	s_andn2_b32 vcc_lo, exec_lo, s9
	global_load_dwordx2 v[17:18], v[17:18], off
	s_cbranch_vccnz .LBB8_101
; %bb.100:                              ;   in Loop: Header=BB8_97 Depth=3
	v_mad_u64_u32 v[19:20], null, v22, s18, v[14:15]
.LBB8_101:                              ;   in Loop: Header=BB8_97 Depth=3
	v_ashrrev_i32_e32 v20, 31, v19
	v_mov_b32_e32 v21, v28
	v_lshlrev_b64 v[19:20], 3, v[19:20]
	v_add_co_u32 v19, vcc_lo, s12, v19
	v_add_co_ci_u32_e64 v20, null, s13, v20, vcc_lo
	s_andn2_b32 vcc_lo, exec_lo, s9
	global_load_dwordx2 v[19:20], v[19:20], off
	s_cbranch_vccnz .LBB8_96
; %bb.102:                              ;   in Loop: Header=BB8_97 Depth=3
	v_mad_u64_u32 v[21:22], null, v22, s18, v[14:15]
	s_branch .LBB8_96
.LBB8_103:                              ;   in Loop: Header=BB8_88 Depth=2
                                        ; implicit-def: $vgpr15
	s_branch .LBB8_90
.LBB8_104:                              ;   in Loop: Header=BB8_88 Depth=2
                                        ; implicit-def: $vgpr17
	s_branch .LBB8_93
.LBB8_105:                              ;   in Loop: Header=BB8_78 Depth=1
	s_or_b32 exec_lo, exec_lo, s22
	s_andn2_b32 s16, s16, exec_lo
.LBB8_106:                              ;   in Loop: Header=BB8_78 Depth=1
	s_or_b32 exec_lo, exec_lo, s17
	s_andn2_b32 s1, s15, exec_lo
	s_and_b32 s15, s15, exec_lo
	s_or_b32 s15, s1, s15
	s_and_saveexec_b32 s1, s16
	s_cbranch_execz .LBB8_77
; %bb.107:                              ;   in Loop: Header=BB8_78 Depth=1
	v_add_nc_u32_e32 v25, 1, v7
	s_or_b32 s15, s15, exec_lo
	s_branch .LBB8_77
.LBB8_108:
	s_or_b32 exec_lo, exec_lo, s8
	s_andn2_b32 s0, s3, exec_lo
	s_and_b32 s1, s14, exec_lo
	s_or_b32 s3, s0, s1
.LBB8_109:
	s_or_b32 exec_lo, exec_lo, s5
	v_add_nc_u32_e32 v12, 1, v6
	s_mov_b32 s1, exec_lo
	v_cmpx_lt_i32_e64 v12, v26
	s_cbranch_execz .LBB8_133
; %bb.110:
	v_mul_lo_u32 v13, v6, s18
	s_mul_i32 s2, s18, s18
	v_cmp_gt_i32_e64 s0, s18, v0
	v_mul_lo_u32 v6, s2, v12
	s_cmp_lg_u32 s26, 0
	s_mov_b32 s5, 0
	s_cselect_b32 s8, -1, 0
	s_add_i32 s9, s18, 1
	v_mad_u64_u32 v[4:5], null, s18, v13, s[18:19]
	s_add_i32 s10, s18, -1
	v_add3_u32 v14, v6, s18, v0
	s_branch .LBB8_112
.LBB8_111:                              ;   in Loop: Header=BB8_112 Depth=1
	v_add_nc_u32_e32 v12, 1, v12
	v_add_nc_u32_e32 v14, s2, v14
	v_cmp_ge_i32_e32 vcc_lo, v12, v26
	s_or_b32 s5, vcc_lo, s5
	s_andn2_b32 exec_lo, exec_lo, s5
	s_cbranch_execz .LBB8_133
.LBB8_112:                              ; =>This Loop Header: Depth=1
                                        ;     Child Loop BB8_115 Depth 2
                                        ;       Child Loop BB8_118 Depth 3
                                        ;         Child Loop BB8_121 Depth 4
	s_andn2_b32 vcc_lo, exec_lo, s4
	s_cbranch_vccnz .LBB8_111
; %bb.113:                              ;   in Loop: Header=BB8_112 Depth=1
	v_mul_lo_u32 v15, v12, s18
	v_mov_b32_e32 v16, v14
	v_mov_b32_e32 v17, v4
	s_mov_b32 s14, 0
	s_mov_b32 s11, s10
	s_branch .LBB8_115
.LBB8_114:                              ;   in Loop: Header=BB8_115 Depth=2
	s_or_b32 exec_lo, exec_lo, s16
	v_add_nc_u32_e32 v17, s9, v17
	v_add_nc_u32_e32 v16, s18, v16
	s_add_i32 s11, s11, -1
	s_cmp_eq_u32 s15, s18
	s_mov_b32 s14, s15
	s_cbranch_scc1 .LBB8_111
.LBB8_115:                              ;   Parent Loop BB8_112 Depth=1
                                        ; =>  This Loop Header: Depth=2
                                        ;       Child Loop BB8_118 Depth 3
                                        ;         Child Loop BB8_121 Depth 4
	s_add_i32 s15, s14, 1
	s_and_saveexec_b32 s16, s0
	s_cbranch_execz .LBB8_114
; %bb.116:                              ;   in Loop: Header=BB8_115 Depth=2
	v_add_nc_u32_e32 v5, s14, v13
	v_add_nc_u32_e32 v6, s14, v15
	v_mov_b32_e32 v20, v16
	v_mov_b32_e32 v21, v0
	s_cmp_lt_i32 s15, s18
	v_mul_lo_u32 v18, v5, s18
	v_mul_lo_u32 v19, v6, s18
	s_cselect_b32 s17, -1, 0
	s_mov_b32 s22, 0
	s_branch .LBB8_118
.LBB8_117:                              ;   in Loop: Header=BB8_118 Depth=3
	v_add_nc_u32_e32 v21, 32, v21
	v_add_nc_u32_e32 v20, 32, v20
	v_cmp_le_i32_e32 vcc_lo, s18, v21
	s_or_b32 s22, vcc_lo, s22
	s_andn2_b32 exec_lo, exec_lo, s22
	s_cbranch_execz .LBB8_114
.LBB8_118:                              ;   Parent Loop BB8_112 Depth=1
                                        ;     Parent Loop BB8_115 Depth=2
                                        ; =>    This Loop Header: Depth=3
                                        ;         Child Loop BB8_121 Depth 4
	s_andn2_b32 vcc_lo, exec_lo, s17
	s_cbranch_vccnz .LBB8_117
; %bb.119:                              ;   in Loop: Header=BB8_118 Depth=3
	v_add_nc_u32_e32 v5, v21, v15
	v_add_nc_u32_e32 v24, v21, v19
	s_mov_b32 s23, 0
	s_mov_b32 s25, s11
	;; [unrolled: 1-line block ×3, first 2 shown]
	v_mul_lo_u32 v22, v5, s18
	v_add_nc_u32_e32 v23, s14, v22
	s_branch .LBB8_121
.LBB8_120:                              ;   in Loop: Header=BB8_121 Depth=4
	s_waitcnt vmcnt(0)
	v_fma_f64 v[5:6], -v[5:6], v[7:8], v[10:11]
	v_ashrrev_i32_e32 v10, 31, v9
	s_add_i32 s25, s25, -1
	s_add_i32 s26, s26, 1
	s_add_i32 s23, s23, s18
	s_cmp_eq_u32 s25, 0
	v_lshlrev_b64 v[7:8], 3, v[9:10]
	v_add_co_u32 v7, vcc_lo, s12, v7
	v_add_co_ci_u32_e64 v8, null, s13, v8, vcc_lo
	global_store_dwordx2 v[7:8], v[5:6], off
	s_cbranch_scc1 .LBB8_117
.LBB8_121:                              ;   Parent Loop BB8_112 Depth=1
                                        ;     Parent Loop BB8_115 Depth=2
                                        ;       Parent Loop BB8_118 Depth=3
                                        ; =>      This Inner Loop Header: Depth=4
	s_and_b32 vcc_lo, exec_lo, s8
	s_cbranch_vccz .LBB8_129
; %bb.122:                              ;   in Loop: Header=BB8_121 Depth=4
	v_add_nc_u32_e32 v5, s26, v18
	v_mov_b32_e32 v7, v23
	s_cbranch_execnz .LBB8_124
.LBB8_123:                              ;   in Loop: Header=BB8_121 Depth=4
	v_add_nc_u32_e32 v5, s23, v17
	v_mov_b32_e32 v7, v24
.LBB8_124:                              ;   in Loop: Header=BB8_121 Depth=4
	v_ashrrev_i32_e32 v6, 31, v5
	v_ashrrev_i32_e32 v8, 31, v7
	v_add_nc_u32_e32 v9, s26, v22
	v_lshlrev_b64 v[5:6], 3, v[5:6]
	v_lshlrev_b64 v[7:8], 3, v[7:8]
	v_add_co_u32 v5, vcc_lo, s12, v5
	v_add_co_ci_u32_e64 v6, null, s13, v6, vcc_lo
	v_add_co_u32 v7, vcc_lo, s12, v7
	v_add_co_ci_u32_e64 v8, null, s13, v8, vcc_lo
	s_clause 0x1
	global_load_dwordx2 v[5:6], v[5:6], off
	global_load_dwordx2 v[7:8], v[7:8], off
	s_and_b32 vcc_lo, exec_lo, s8
	s_cbranch_vccz .LBB8_130
; %bb.125:                              ;   in Loop: Header=BB8_121 Depth=4
	v_add_nc_u32_e32 v10, s26, v22
	v_add_nc_u32_e32 v25, s23, v20
	s_cbranch_execnz .LBB8_127
.LBB8_126:                              ;   in Loop: Header=BB8_121 Depth=4
	v_add_nc_u32_e32 v10, s23, v20
.LBB8_127:                              ;   in Loop: Header=BB8_121 Depth=4
	v_ashrrev_i32_e32 v11, 31, v10
	v_lshlrev_b64 v[10:11], 3, v[10:11]
	v_add_co_u32 v10, vcc_lo, s12, v10
	v_add_co_ci_u32_e64 v11, null, s13, v11, vcc_lo
	s_and_b32 vcc_lo, exec_lo, s8
	global_load_dwordx2 v[10:11], v[10:11], off
	s_cbranch_vccz .LBB8_131
; %bb.128:                              ;   in Loop: Header=BB8_121 Depth=4
	s_cbranch_execnz .LBB8_120
	s_branch .LBB8_132
.LBB8_129:                              ;   in Loop: Header=BB8_121 Depth=4
                                        ; implicit-def: $vgpr5
	v_mov_b32_e32 v7, v23
	s_branch .LBB8_123
.LBB8_130:                              ;   in Loop: Header=BB8_121 Depth=4
                                        ; implicit-def: $vgpr10
	v_add_nc_u32_e32 v25, s23, v20
	s_branch .LBB8_126
.LBB8_131:                              ;   in Loop: Header=BB8_121 Depth=4
                                        ; implicit-def: $vgpr9
.LBB8_132:                              ;   in Loop: Header=BB8_121 Depth=4
	v_mov_b32_e32 v9, v25
	s_branch .LBB8_120
.LBB8_133:
	s_or_b32 exec_lo, exec_lo, s1
	s_orn2_b32 s0, s3, exec_lo
.LBB8_134:
	s_or_b32 exec_lo, exec_lo, s19
	v_cmp_eq_u32_e32 vcc_lo, 0, v0
	s_and_b32 exec_lo, exec_lo, vcc_lo
	s_cbranch_execz .LBB8_140
; %bb.135:
	v_add_co_u32 v2, vcc_lo, s20, v2
	v_add_co_ci_u32_e64 v3, null, s21, v3, vcc_lo
	v_mov_b32_e32 v0, 1
	s_waitcnt_vscnt null, 0x0
	global_store_dword v[2:3], v0, off
	s_and_b32 exec_lo, exec_lo, s0
	s_cbranch_execz .LBB8_140
; %bb.136:
	v_add_nc_u32_e32 v0, s24, v1
	s_mov_b32 s1, exec_lo
	s_brev_b32 s0, -2
.LBB8_137:                              ; =>This Inner Loop Header: Depth=1
	s_ff1_i32_b32 s2, s1
	v_readlane_b32 s3, v0, s2
	s_lshl_b32 s2, 1, s2
	s_andn2_b32 s1, s1, s2
	s_min_i32 s0, s0, s3
	s_cmp_lg_u32 s1, 0
	s_cbranch_scc1 .LBB8_137
; %bb.138:
	v_mbcnt_lo_u32_b32 v0, exec_lo, 0
	s_mov_b32 s1, exec_lo
	v_cmpx_eq_u32_e32 0, v0
	s_xor_b32 s1, exec_lo, s1
	s_cbranch_execz .LBB8_140
; %bb.139:
	v_mov_b32_e32 v0, 0
	v_mov_b32_e32 v1, s0
	global_atomic_smin v0, v1, s[6:7]
.LBB8_140:
	s_endpgm
	.section	.rodata,"a",@progbits
	.p2align	6, 0x0
	.amdhsa_kernel _ZN9rocsparseL15bsrilu0_generalILj128ELj32ELb0EdEEv20rocsparse_direction_iPKiS3_PT2_S3_iPiS3_S6_21rocsparse_index_base_imNS_24const_host_device_scalarIfEENS8_IdEENS8_IS4_EEb
		.amdhsa_group_segment_fixed_size 0
		.amdhsa_private_segment_fixed_size 0
		.amdhsa_kernarg_size 116
		.amdhsa_user_sgpr_count 6
		.amdhsa_user_sgpr_private_segment_buffer 1
		.amdhsa_user_sgpr_dispatch_ptr 0
		.amdhsa_user_sgpr_queue_ptr 0
		.amdhsa_user_sgpr_kernarg_segment_ptr 1
		.amdhsa_user_sgpr_dispatch_id 0
		.amdhsa_user_sgpr_flat_scratch_init 0
		.amdhsa_user_sgpr_private_segment_size 0
		.amdhsa_wavefront_size32 1
		.amdhsa_uses_dynamic_stack 0
		.amdhsa_system_sgpr_private_segment_wavefront_offset 0
		.amdhsa_system_sgpr_workgroup_id_x 1
		.amdhsa_system_sgpr_workgroup_id_y 0
		.amdhsa_system_sgpr_workgroup_id_z 0
		.amdhsa_system_sgpr_workgroup_info 0
		.amdhsa_system_vgpr_workitem_id 0
		.amdhsa_next_free_vgpr 42
		.amdhsa_next_free_sgpr 44
		.amdhsa_reserve_vcc 1
		.amdhsa_reserve_flat_scratch 0
		.amdhsa_float_round_mode_32 0
		.amdhsa_float_round_mode_16_64 0
		.amdhsa_float_denorm_mode_32 3
		.amdhsa_float_denorm_mode_16_64 3
		.amdhsa_dx10_clamp 1
		.amdhsa_ieee_mode 1
		.amdhsa_fp16_overflow 0
		.amdhsa_workgroup_processor_mode 1
		.amdhsa_memory_ordered 1
		.amdhsa_forward_progress 1
		.amdhsa_shared_vgpr_count 0
		.amdhsa_exception_fp_ieee_invalid_op 0
		.amdhsa_exception_fp_denorm_src 0
		.amdhsa_exception_fp_ieee_div_zero 0
		.amdhsa_exception_fp_ieee_overflow 0
		.amdhsa_exception_fp_ieee_underflow 0
		.amdhsa_exception_fp_ieee_inexact 0
		.amdhsa_exception_int_div_zero 0
	.end_amdhsa_kernel
	.section	.text._ZN9rocsparseL15bsrilu0_generalILj128ELj32ELb0EdEEv20rocsparse_direction_iPKiS3_PT2_S3_iPiS3_S6_21rocsparse_index_base_imNS_24const_host_device_scalarIfEENS8_IdEENS8_IS4_EEb,"axG",@progbits,_ZN9rocsparseL15bsrilu0_generalILj128ELj32ELb0EdEEv20rocsparse_direction_iPKiS3_PT2_S3_iPiS3_S6_21rocsparse_index_base_imNS_24const_host_device_scalarIfEENS8_IdEENS8_IS4_EEb,comdat
.Lfunc_end8:
	.size	_ZN9rocsparseL15bsrilu0_generalILj128ELj32ELb0EdEEv20rocsparse_direction_iPKiS3_PT2_S3_iPiS3_S6_21rocsparse_index_base_imNS_24const_host_device_scalarIfEENS8_IdEENS8_IS4_EEb, .Lfunc_end8-_ZN9rocsparseL15bsrilu0_generalILj128ELj32ELb0EdEEv20rocsparse_direction_iPKiS3_PT2_S3_iPiS3_S6_21rocsparse_index_base_imNS_24const_host_device_scalarIfEENS8_IdEENS8_IS4_EEb
                                        ; -- End function
	.set _ZN9rocsparseL15bsrilu0_generalILj128ELj32ELb0EdEEv20rocsparse_direction_iPKiS3_PT2_S3_iPiS3_S6_21rocsparse_index_base_imNS_24const_host_device_scalarIfEENS8_IdEENS8_IS4_EEb.num_vgpr, 42
	.set _ZN9rocsparseL15bsrilu0_generalILj128ELj32ELb0EdEEv20rocsparse_direction_iPKiS3_PT2_S3_iPiS3_S6_21rocsparse_index_base_imNS_24const_host_device_scalarIfEENS8_IdEENS8_IS4_EEb.num_agpr, 0
	.set _ZN9rocsparseL15bsrilu0_generalILj128ELj32ELb0EdEEv20rocsparse_direction_iPKiS3_PT2_S3_iPiS3_S6_21rocsparse_index_base_imNS_24const_host_device_scalarIfEENS8_IdEENS8_IS4_EEb.numbered_sgpr, 44
	.set _ZN9rocsparseL15bsrilu0_generalILj128ELj32ELb0EdEEv20rocsparse_direction_iPKiS3_PT2_S3_iPiS3_S6_21rocsparse_index_base_imNS_24const_host_device_scalarIfEENS8_IdEENS8_IS4_EEb.num_named_barrier, 0
	.set _ZN9rocsparseL15bsrilu0_generalILj128ELj32ELb0EdEEv20rocsparse_direction_iPKiS3_PT2_S3_iPiS3_S6_21rocsparse_index_base_imNS_24const_host_device_scalarIfEENS8_IdEENS8_IS4_EEb.private_seg_size, 0
	.set _ZN9rocsparseL15bsrilu0_generalILj128ELj32ELb0EdEEv20rocsparse_direction_iPKiS3_PT2_S3_iPiS3_S6_21rocsparse_index_base_imNS_24const_host_device_scalarIfEENS8_IdEENS8_IS4_EEb.uses_vcc, 1
	.set _ZN9rocsparseL15bsrilu0_generalILj128ELj32ELb0EdEEv20rocsparse_direction_iPKiS3_PT2_S3_iPiS3_S6_21rocsparse_index_base_imNS_24const_host_device_scalarIfEENS8_IdEENS8_IS4_EEb.uses_flat_scratch, 0
	.set _ZN9rocsparseL15bsrilu0_generalILj128ELj32ELb0EdEEv20rocsparse_direction_iPKiS3_PT2_S3_iPiS3_S6_21rocsparse_index_base_imNS_24const_host_device_scalarIfEENS8_IdEENS8_IS4_EEb.has_dyn_sized_stack, 0
	.set _ZN9rocsparseL15bsrilu0_generalILj128ELj32ELb0EdEEv20rocsparse_direction_iPKiS3_PT2_S3_iPiS3_S6_21rocsparse_index_base_imNS_24const_host_device_scalarIfEENS8_IdEENS8_IS4_EEb.has_recursion, 0
	.set _ZN9rocsparseL15bsrilu0_generalILj128ELj32ELb0EdEEv20rocsparse_direction_iPKiS3_PT2_S3_iPiS3_S6_21rocsparse_index_base_imNS_24const_host_device_scalarIfEENS8_IdEENS8_IS4_EEb.has_indirect_call, 0
	.section	.AMDGPU.csdata,"",@progbits
; Kernel info:
; codeLenInByte = 4056
; TotalNumSgprs: 46
; NumVgprs: 42
; ScratchSize: 0
; MemoryBound: 0
; FloatMode: 240
; IeeeMode: 1
; LDSByteSize: 0 bytes/workgroup (compile time only)
; SGPRBlocks: 0
; VGPRBlocks: 5
; NumSGPRsForWavesPerEU: 46
; NumVGPRsForWavesPerEU: 42
; Occupancy: 16
; WaveLimiterHint : 1
; COMPUTE_PGM_RSRC2:SCRATCH_EN: 0
; COMPUTE_PGM_RSRC2:USER_SGPR: 6
; COMPUTE_PGM_RSRC2:TRAP_HANDLER: 0
; COMPUTE_PGM_RSRC2:TGID_X_EN: 1
; COMPUTE_PGM_RSRC2:TGID_Y_EN: 0
; COMPUTE_PGM_RSRC2:TGID_Z_EN: 0
; COMPUTE_PGM_RSRC2:TIDIG_COMP_CNT: 0
	.section	.text._ZN9rocsparseL11bsrilu0_2_8ILj64ELj64ELj8EdEEv20rocsparse_direction_iPKiS3_PT2_S3_iPiS3_S6_21rocsparse_index_base_imNS_24const_host_device_scalarIfEENS8_IdEENS8_IS4_EEb,"axG",@progbits,_ZN9rocsparseL11bsrilu0_2_8ILj64ELj64ELj8EdEEv20rocsparse_direction_iPKiS3_PT2_S3_iPiS3_S6_21rocsparse_index_base_imNS_24const_host_device_scalarIfEENS8_IdEENS8_IS4_EEb,comdat
	.globl	_ZN9rocsparseL11bsrilu0_2_8ILj64ELj64ELj8EdEEv20rocsparse_direction_iPKiS3_PT2_S3_iPiS3_S6_21rocsparse_index_base_imNS_24const_host_device_scalarIfEENS8_IdEENS8_IS4_EEb ; -- Begin function _ZN9rocsparseL11bsrilu0_2_8ILj64ELj64ELj8EdEEv20rocsparse_direction_iPKiS3_PT2_S3_iPiS3_S6_21rocsparse_index_base_imNS_24const_host_device_scalarIfEENS8_IdEENS8_IS4_EEb
	.p2align	8
	.type	_ZN9rocsparseL11bsrilu0_2_8ILj64ELj64ELj8EdEEv20rocsparse_direction_iPKiS3_PT2_S3_iPiS3_S6_21rocsparse_index_base_imNS_24const_host_device_scalarIfEENS8_IdEENS8_IS4_EEb,@function
_ZN9rocsparseL11bsrilu0_2_8ILj64ELj64ELj8EdEEv20rocsparse_direction_iPKiS3_PT2_S3_iPiS3_S6_21rocsparse_index_base_imNS_24const_host_device_scalarIfEENS8_IdEENS8_IS4_EEb: ; @_ZN9rocsparseL11bsrilu0_2_8ILj64ELj64ELj8EdEEv20rocsparse_direction_iPKiS3_PT2_S3_iPiS3_S6_21rocsparse_index_base_imNS_24const_host_device_scalarIfEENS8_IdEENS8_IS4_EEb
; %bb.0:
	s_clause 0x2
	s_load_dword s0, s[4:5], 0x70
	s_load_dwordx2 s[24:25], s[4:5], 0x48
	s_load_dwordx8 s[16:23], s[4:5], 0x50
	s_waitcnt lgkmcnt(0)
	s_bitcmp1_b32 s0, 0
	s_cselect_b32 s0, -1, 0
	s_cmp_eq_u32 s25, 0
	s_cselect_b32 s2, -1, 0
	s_cmp_lg_u32 s25, 0
	s_cselect_b32 s36, -1, 0
	s_or_b32 s7, s2, s0
	s_xor_b32 s3, s7, -1
	s_and_b32 s0, s2, exec_lo
	s_cselect_b32 s1, 0, s21
	s_cselect_b32 s0, 0, s20
	s_and_b32 vcc_lo, exec_lo, s7
	s_cbranch_vccnz .LBB9_2
; %bb.1:
	s_load_dword s0, s[18:19], 0x0
	s_waitcnt lgkmcnt(0)
	v_mov_b32_e32 v19, s0
	s_mov_b64 s[0:1], s[20:21]
	s_branch .LBB9_3
.LBB9_2:
	v_cndmask_b32_e64 v19, s18, 0, s2
.LBB9_3:
	v_mov_b32_e32 v5, s1
	v_cndmask_b32_e64 v2, 0, 1, s3
	v_mov_b32_e32 v4, s0
	s_andn2_b32 vcc_lo, exec_lo, s3
	s_cbranch_vccnz .LBB9_5
; %bb.4:
	v_mov_b32_e32 v3, s20
	v_mov_b32_e32 v4, s21
	flat_load_dwordx2 v[4:5], v[3:4]
.LBB9_5:
	s_and_b32 s0, s2, exec_lo
	s_cselect_b32 s1, 0, s23
	v_cmp_ne_u32_e32 vcc_lo, 1, v2
	s_cselect_b32 s0, 0, s22
	v_mov_b32_e32 v3, s1
	v_mov_b32_e32 v2, s0
	s_mov_b32 s7, 0
	s_cbranch_vccnz .LBB9_7
; %bb.6:
	v_mov_b32_e32 v2, s22
	v_mov_b32_e32 v3, s23
	flat_load_dwordx2 v[2:3], v[2:3]
.LBB9_7:
	s_load_dwordx4 s[20:23], s[4:5], 0x30
	s_lshl_b64 s[0:1], s[6:7], 2
	s_load_dwordx2 s[6:7], s[4:5], 0x40
	s_waitcnt lgkmcnt(0)
	s_add_u32 s0, s22, s0
	s_addc_u32 s1, s23, s1
	s_load_dword s18, s[0:1], 0x0
	s_load_dwordx8 s[8:15], s[4:5], 0x8
	s_waitcnt lgkmcnt(0)
	s_ashr_i32 s19, s18, 31
	s_lshl_b64 s[22:23], s[18:19], 2
	s_add_u32 s0, s14, s22
	s_addc_u32 s1, s15, s23
	s_load_dword s26, s[0:1], 0x0
	s_waitcnt lgkmcnt(0)
	s_cmp_eq_u32 s26, -1
	s_cbranch_scc1 .LBB9_81
; %bb.8:
	s_add_u32 s0, s8, s22
	s_addc_u32 s1, s9, s23
	s_load_dword s19, s[4:5], 0x28
	s_load_dwordx2 s[2:3], s[0:1], 0x0
	s_load_dwordx2 s[28:29], s[4:5], 0x0
	v_max_u32_e32 v16, v0, v1
	v_mul_u32_u24_e32 v17, 0x48, v1
	v_lshlrev_b32_e32 v18, 3, v0
	v_add_nc_u32_e32 v15, 1, v1
	s_mov_b32 s33, 0
	s_waitcnt lgkmcnt(0)
	v_cmp_gt_u32_e64 s0, s19, v16
	s_sub_i32 s30, s2, s24
	s_sub_i32 s25, s3, s24
	s_cmp_ge_i32 s30, s26
	s_cbranch_scc1 .LBB9_59
; %bb.9:
	s_cmp_eq_u32 s28, 0
	v_add_nc_u32_e32 v20, 0x240, v18
	s_cselect_b32 vcc_lo, -1, 0
	s_cmp_gt_i32 s19, 0
	v_mad_u32_u24 v21, 0x48, v1, v18
	s_cselect_b32 s27, -1, 0
	s_add_u32 s4, s4, 0x78
	s_addc_u32 s5, s5, 0
	s_add_i32 s29, s29, 1
	s_cmp_lg_u32 s19, 1
	v_mad_u32_u24 v22, 0x48, v1, v20
	v_cmp_eq_u32_e64 s1, 0, v1
	v_add_nc_u32_e32 v23, s30, v0
	v_cndmask_b32_e32 v6, v1, v0, vcc_lo
	v_cndmask_b32_e32 v7, v0, v1, vcc_lo
	s_cselect_b32 s37, -1, 0
	s_and_b32 s38, s19, 0x7ffffffe
	v_add_nc_u32_e32 v24, 1, v1
	v_mad_u32_u24 v25, 0x48, v1, 0x48
	v_add_nc_u32_e32 v26, 0x288, v21
	v_mov_b32_e32 v27, 0
	s_bitcmp1_b32 s19, 0
	s_cselect_b32 s39, -1, 0
	s_branch .LBB9_12
.LBB9_10:                               ;   in Loop: Header=BB9_12 Depth=1
	s_mov_b32 s33, -1
.LBB9_11:                               ;   in Loop: Header=BB9_12 Depth=1
	s_add_i32 s30, s30, 1
	s_cmp_lt_i32 s30, s26
	s_cselect_b32 s3, -1, 0
	s_and_b32 s2, s2, s3
	s_and_b32 vcc_lo, exec_lo, s2
	s_cbranch_vccz .LBB9_59
.LBB9_12:                               ; =>This Loop Header: Depth=1
                                        ;     Child Loop BB9_16 Depth 2
                                        ;     Child Loop BB9_23 Depth 2
	;; [unrolled: 1-line block ×3, first 2 shown]
                                        ;       Child Loop BB9_48 Depth 3
                                        ;       Child Loop BB9_56 Depth 3
	s_ashr_i32 s31, s30, 31
	v_mov_b32_e32 v8, 0
	s_lshl_b64 s[2:3], s[30:31], 2
	v_mov_b32_e32 v9, 0
	s_add_u32 s2, s10, s2
	s_addc_u32 s3, s11, s3
	global_load_dword v10, v27, s[2:3]
	s_waitcnt vmcnt(0)
	v_readfirstlane_b32 s2, v10
	s_and_saveexec_b32 s3, s0
	s_cbranch_execz .LBB9_14
; %bb.13:                               ;   in Loop: Header=BB9_12 Depth=1
	v_mad_u64_u32 v[8:9], null, s30, s19, v[6:7]
	v_mad_u64_u32 v[8:9], null, v8, s19, v[7:8]
	v_mov_b32_e32 v9, v27
	v_lshlrev_b64 v[8:9], 3, v[8:9]
	v_add_co_u32 v8, vcc_lo, s12, v8
	v_add_co_ci_u32_e64 v9, null, s13, v9, vcc_lo
	global_load_dwordx2 v[8:9], v[8:9], off
.LBB9_14:                               ;   in Loop: Header=BB9_12 Depth=1
	s_or_b32 exec_lo, exec_lo, s3
	s_sub_i32 s2, s2, s24
	s_waitcnt vmcnt(0)
	ds_write_b64 v22, v[8:9]
	s_ashr_i32 s3, s2, 31
	s_lshl_b64 s[34:35], s[2:3], 2
	s_add_u32 s2, s14, s34
	s_addc_u32 s3, s15, s35
	global_load_dword v10, v27, s[2:3]
	s_waitcnt vmcnt(0)
	v_cmp_eq_u32_e32 vcc_lo, -1, v10
	v_readfirstlane_b32 s3, v10
	v_cmp_ne_u32_e64 s2, -1, v10
	s_cbranch_vccnz .LBB9_10
; %bb.15:                               ;   in Loop: Header=BB9_12 Depth=1
	s_add_u32 s40, s8, s34
	s_addc_u32 s41, s9, s35
	s_add_u32 s34, s20, s34
	global_load_dword v8, v27, s[40:41] offset:4
	s_addc_u32 s35, s21, s35
	s_waitcnt vmcnt(0)
	v_readfirstlane_b32 s31, v8
.LBB9_16:                               ;   Parent Loop BB9_12 Depth=1
                                        ; =>  This Inner Loop Header: Depth=2
	global_load_dword v8, v27, s[34:35] glc dlc
	s_waitcnt vmcnt(0)
	v_cmp_eq_u32_e32 vcc_lo, 0, v8
	s_cbranch_vccnz .LBB9_16
; %bb.17:                               ;   in Loop: Header=BB9_12 Depth=1
	v_mov_b32_e32 v8, 0
	v_mov_b32_e32 v9, 0
	s_waitcnt lgkmcnt(0)
	buffer_gl1_inv
	buffer_gl0_inv
	s_and_saveexec_b32 s34, s0
	s_cbranch_execz .LBB9_19
; %bb.18:                               ;   in Loop: Header=BB9_12 Depth=1
	v_mad_u64_u32 v[8:9], null, s3, s19, v[6:7]
	v_mad_u64_u32 v[8:9], null, v8, s19, v[7:8]
	v_mov_b32_e32 v9, v27
	v_lshlrev_b64 v[8:9], 3, v[8:9]
	v_add_co_u32 v8, vcc_lo, s12, v8
	v_add_co_ci_u32_e64 v9, null, s13, v9, vcc_lo
	global_load_dwordx2 v[8:9], v[8:9], off
.LBB9_19:                               ;   in Loop: Header=BB9_12 Depth=1
	s_or_b32 exec_lo, exec_lo, s34
	s_andn2_b32 vcc_lo, exec_lo, s27
	s_waitcnt vmcnt(0)
	ds_write_b64 v21, v[8:9]
	s_waitcnt lgkmcnt(0)
	buffer_gl0_inv
	s_cbranch_vccnz .LBB9_37
; %bb.20:                               ;   in Loop: Header=BB9_12 Depth=1
	s_andn2_b32 vcc_lo, exec_lo, s37
	s_mov_b32 s40, 0
	s_cbranch_vccnz .LBB9_31
; %bb.21:                               ;   in Loop: Header=BB9_12 Depth=1
	v_mov_b32_e32 v10, v20
	v_mov_b32_e32 v11, v26
	;; [unrolled: 1-line block ×3, first 2 shown]
	s_mov_b32 s34, 0
	s_mov_b32 s35, 0
	s_branch .LBB9_23
.LBB9_22:                               ;   in Loop: Header=BB9_23 Depth=2
	s_or_b32 exec_lo, exec_lo, s40
	v_add_nc_u32_e32 v12, 0xa0, v12
	v_add_nc_u32_e32 v11, 0x90, v11
	;; [unrolled: 1-line block ×3, first 2 shown]
	s_add_i32 s35, s35, 2
	s_addk_i32 s34, 0xa0
	s_cmp_eq_u32 s38, s35
	s_mov_b32 s40, s38
	s_waitcnt lgkmcnt(0)
	buffer_gl0_inv
	s_cbranch_scc1 .LBB9_31
.LBB9_23:                               ;   Parent Loop BB9_12 Depth=1
                                        ; =>  This Inner Loop Header: Depth=2
	v_mov_b32_e32 v8, s34
	ds_read_b64 v[8:9], v8
	ds_read_b64 v[13:14], v10
	s_waitcnt lgkmcnt(0)
	buffer_gl0_inv
	v_div_scale_f64 v[28:29], null, v[8:9], v[8:9], v[13:14]
	v_rcp_f64_e32 v[30:31], v[28:29]
	v_fma_f64 v[32:33], -v[28:29], v[30:31], 1.0
	v_fma_f64 v[30:31], v[30:31], v[32:33], v[30:31]
	v_fma_f64 v[32:33], -v[28:29], v[30:31], 1.0
	v_fma_f64 v[30:31], v[30:31], v[32:33], v[30:31]
	v_div_scale_f64 v[32:33], vcc_lo, v[13:14], v[8:9], v[13:14]
	v_mul_f64 v[34:35], v[32:33], v[30:31]
	v_fma_f64 v[28:29], -v[28:29], v[34:35], v[32:33]
	v_div_fmas_f64 v[28:29], v[28:29], v[30:31], v[34:35]
	v_div_fixup_f64 v[8:9], v[28:29], v[8:9], v[13:14]
	s_and_saveexec_b32 s40, s1
; %bb.24:                               ;   in Loop: Header=BB9_23 Depth=2
	ds_write_b64 v10, v[8:9]
; %bb.25:                               ;   in Loop: Header=BB9_23 Depth=2
	s_or_b32 exec_lo, exec_lo, s40
	v_add_nc_u32_e32 v13, s35, v1
	s_mov_b32 s40, exec_lo
	v_add_nc_u32_e32 v14, 1, v13
	v_cmpx_gt_i32_e64 s19, v14
	s_cbranch_execz .LBB9_27
; %bb.26:                               ;   in Loop: Header=BB9_23 Depth=2
	ds_read_b64 v[28:29], v12
	ds_read_b64 v[30:31], v11
	s_waitcnt lgkmcnt(0)
	v_fma_f64 v[8:9], -v[8:9], v[28:29], v[30:31]
	ds_write_b64 v11, v[8:9]
.LBB9_27:                               ;   in Loop: Header=BB9_23 Depth=2
	s_or_b32 exec_lo, exec_lo, s40
	v_mov_b32_e32 v8, s34
	s_waitcnt lgkmcnt(0)
	buffer_gl0_inv
	ds_read_b64 v[8:9], v8 offset:80
	ds_read_b64 v[28:29], v10 offset:72
	s_waitcnt lgkmcnt(0)
	buffer_gl0_inv
	v_div_scale_f64 v[30:31], null, v[8:9], v[8:9], v[28:29]
	v_rcp_f64_e32 v[32:33], v[30:31]
	v_fma_f64 v[34:35], -v[30:31], v[32:33], 1.0
	v_fma_f64 v[32:33], v[32:33], v[34:35], v[32:33]
	v_fma_f64 v[34:35], -v[30:31], v[32:33], 1.0
	v_fma_f64 v[32:33], v[32:33], v[34:35], v[32:33]
	v_div_scale_f64 v[34:35], vcc_lo, v[28:29], v[8:9], v[28:29]
	v_mul_f64 v[36:37], v[34:35], v[32:33]
	v_fma_f64 v[30:31], -v[30:31], v[36:37], v[34:35]
	v_div_fmas_f64 v[30:31], v[30:31], v[32:33], v[36:37]
	v_div_fixup_f64 v[8:9], v[30:31], v[8:9], v[28:29]
	s_and_saveexec_b32 s40, s1
; %bb.28:                               ;   in Loop: Header=BB9_23 Depth=2
	ds_write_b64 v10, v[8:9] offset:72
; %bb.29:                               ;   in Loop: Header=BB9_23 Depth=2
	s_or_b32 exec_lo, exec_lo, s40
	v_add_nc_u32_e32 v13, 2, v13
	s_mov_b32 s40, exec_lo
	v_cmpx_gt_i32_e64 s19, v13
	s_cbranch_execz .LBB9_22
; %bb.30:                               ;   in Loop: Header=BB9_23 Depth=2
	ds_read_b64 v[13:14], v12 offset:80
	ds_read_b64 v[28:29], v11 offset:72
	s_waitcnt lgkmcnt(0)
	v_fma_f64 v[8:9], -v[8:9], v[13:14], v[28:29]
	ds_write_b64 v11, v[8:9] offset:72
	s_branch .LBB9_22
.LBB9_31:                               ;   in Loop: Header=BB9_12 Depth=1
	s_andn2_b32 vcc_lo, exec_lo, s39
	s_cbranch_vccnz .LBB9_37
; %bb.32:                               ;   in Loop: Header=BB9_12 Depth=1
	s_mul_i32 s34, s40, 0x48
	s_lshl_b32 s35, s40, 3
	v_add_nc_u32_e32 v10, s34, v20
	s_add_i32 s41, s34, s35
	v_mov_b32_e32 v8, s41
	ds_read_b64 v[8:9], v8
	ds_read_b64 v[11:12], v10
	s_waitcnt lgkmcnt(0)
	buffer_gl0_inv
	v_div_scale_f64 v[13:14], null, v[8:9], v[8:9], v[11:12]
	v_rcp_f64_e32 v[28:29], v[13:14]
	v_fma_f64 v[30:31], -v[13:14], v[28:29], 1.0
	v_fma_f64 v[28:29], v[28:29], v[30:31], v[28:29]
	v_fma_f64 v[30:31], -v[13:14], v[28:29], 1.0
	v_fma_f64 v[28:29], v[28:29], v[30:31], v[28:29]
	v_div_scale_f64 v[30:31], vcc_lo, v[11:12], v[8:9], v[11:12]
	v_mul_f64 v[32:33], v[30:31], v[28:29]
	v_fma_f64 v[13:14], -v[13:14], v[32:33], v[30:31]
	v_div_fmas_f64 v[13:14], v[13:14], v[28:29], v[32:33]
	v_div_fixup_f64 v[8:9], v[13:14], v[8:9], v[11:12]
	s_and_saveexec_b32 s41, s1
; %bb.33:                               ;   in Loop: Header=BB9_12 Depth=1
	ds_write_b64 v10, v[8:9]
; %bb.34:                               ;   in Loop: Header=BB9_12 Depth=1
	s_or_b32 exec_lo, exec_lo, s41
	v_add_nc_u32_e32 v11, s40, v24
	s_mov_b32 s40, exec_lo
	v_cmpx_gt_i32_e64 s19, v11
	s_cbranch_execz .LBB9_36
; %bb.35:                               ;   in Loop: Header=BB9_12 Depth=1
	v_mul_u32_u24_e32 v11, 0x48, v1
	v_mad_u32_u24 v14, 0x48, v1, v10
	v_add3_u32 v11, s35, s34, v11
	ds_read_b64 v[10:11], v11 offset:72
	ds_read_b64 v[12:13], v14 offset:72
	s_waitcnt lgkmcnt(0)
	v_fma_f64 v[8:9], -v[8:9], v[10:11], v[12:13]
	ds_write_b64 v14, v[8:9] offset:72
.LBB9_36:                               ;   in Loop: Header=BB9_12 Depth=1
	s_or_b32 exec_lo, exec_lo, s40
	s_waitcnt lgkmcnt(0)
	buffer_gl0_inv
.LBB9_37:                               ;   in Loop: Header=BB9_12 Depth=1
	s_and_saveexec_b32 s34, s0
	s_cbranch_execz .LBB9_39
; %bb.38:                               ;   in Loop: Header=BB9_12 Depth=1
	v_mad_u64_u32 v[8:9], null, s30, s19, v[6:7]
	ds_read_b64 v[10:11], v22
	v_mad_u64_u32 v[8:9], null, v8, s19, v[7:8]
	v_mov_b32_e32 v9, v27
	v_lshlrev_b64 v[8:9], 3, v[8:9]
	v_add_co_u32 v8, vcc_lo, s12, v8
	v_add_co_ci_u32_e64 v9, null, s13, v9, vcc_lo
	s_waitcnt lgkmcnt(0)
	global_store_dwordx2 v[8:9], v[10:11], off
.LBB9_39:                               ;   in Loop: Header=BB9_12 Depth=1
	s_or_b32 exec_lo, exec_lo, s34
	s_sub_i32 s31, s31, s24
	s_add_i32 s34, s3, 1
	s_cmp_ge_i32 s34, s31
	s_cbranch_scc1 .LBB9_11
; %bb.40:                               ;   in Loop: Header=BB9_12 Depth=1
	s_load_dword s3, s[4:5], 0xc
	s_waitcnt lgkmcnt(0)
	s_and_b32 s3, s3, 0xffff
	v_mad_u32_u24 v8, v1, s3, v23
	v_ashrrev_i32_e32 v9, 31, v8
	v_cmp_gt_i32_e64 s3, s25, v8
	v_lshlrev_b64 v[9:10], 2, v[8:9]
	v_add_co_u32 v9, vcc_lo, s10, v9
	v_add_co_ci_u32_e64 v10, null, s11, v10, vcc_lo
	s_branch .LBB9_43
.LBB9_41:                               ;   in Loop: Header=BB9_43 Depth=2
	s_or_b32 exec_lo, exec_lo, s35
.LBB9_42:                               ;   in Loop: Header=BB9_43 Depth=2
	s_add_i32 s34, s34, 1
	s_waitcnt_vscnt null, 0x0
	buffer_gl0_inv
	s_cmp_lt_i32 s34, s31
	s_cbranch_scc0 .LBB9_11
.LBB9_43:                               ;   Parent Loop BB9_12 Depth=1
                                        ; =>  This Loop Header: Depth=2
                                        ;       Child Loop BB9_48 Depth 3
                                        ;       Child Loop BB9_56 Depth 3
	s_ashr_i32 s35, s34, 31
	v_mov_b32_e32 v12, s29
	s_lshl_b64 s[40:41], s[34:35], 2
	s_add_u32 s40, s10, s40
	s_addc_u32 s41, s11, s41
	global_load_dword v11, v27, s[40:41]
	s_and_saveexec_b32 s35, s3
	s_cbranch_execz .LBB9_45
; %bb.44:                               ;   in Loop: Header=BB9_43 Depth=2
	global_load_dword v12, v[9:10], off
	s_waitcnt vmcnt(0)
	v_subrev_nc_u32_e32 v12, s24, v12
.LBB9_45:                               ;   in Loop: Header=BB9_43 Depth=2
	s_or_b32 exec_lo, exec_lo, s35
	s_waitcnt vmcnt(0)
	v_subrev_nc_u32_e32 v13, s24, v11
	v_mov_b32_e32 v14, v8
	s_mov_b32 s35, exec_lo
	v_cmpx_lt_i32_e64 v12, v13
	s_cbranch_execz .LBB9_51
; %bb.46:                               ;   in Loop: Header=BB9_43 Depth=2
	v_mov_b32_e32 v11, v8
	s_mov_b32 s40, 0
	s_branch .LBB9_48
	.p2align	6
.LBB9_47:                               ;   in Loop: Header=BB9_48 Depth=3
	s_or_b32 exec_lo, exec_lo, s41
	v_cmp_ge_i32_e32 vcc_lo, v12, v13
	v_mov_b32_e32 v11, v14
	s_or_b32 s40, vcc_lo, s40
	s_andn2_b32 exec_lo, exec_lo, s40
	s_cbranch_execz .LBB9_50
.LBB9_48:                               ;   Parent Loop BB9_12 Depth=1
                                        ;     Parent Loop BB9_43 Depth=2
                                        ; =>    This Inner Loop Header: Depth=3
	v_add_nc_u32_e32 v14, 64, v11
	v_mov_b32_e32 v12, s29
	s_mov_b32 s41, exec_lo
	v_cmpx_gt_i32_e64 s25, v14
	s_cbranch_execz .LBB9_47
; %bb.49:                               ;   in Loop: Header=BB9_48 Depth=3
	v_ashrrev_i32_e32 v12, 31, v11
	v_lshlrev_b64 v[11:12], 2, v[11:12]
	v_add_co_u32 v11, vcc_lo, s10, v11
	v_add_co_ci_u32_e64 v12, null, s11, v12, vcc_lo
	global_load_dword v11, v[11:12], off offset:256
	s_waitcnt vmcnt(0)
	v_subrev_nc_u32_e32 v12, s24, v11
	s_branch .LBB9_47
.LBB9_50:                               ;   in Loop: Header=BB9_43 Depth=2
	s_or_b32 exec_lo, exec_lo, s40
.LBB9_51:                               ;   in Loop: Header=BB9_43 Depth=2
	s_or_b32 exec_lo, exec_lo, s35
	v_cmp_eq_u32_e32 vcc_lo, v12, v13
	s_cbranch_vccz .LBB9_42
; %bb.52:                               ;   in Loop: Header=BB9_43 Depth=2
	s_ff1_i32_b32 s35, vcc_lo
	s_lshl_b32 s35, s35, 2
	v_mov_b32_e32 v11, s35
	ds_bpermute_b32 v28, v11, v14
	v_mov_b32_e32 v11, 0
	v_mov_b32_e32 v13, 0
	;; [unrolled: 1-line block ×4, first 2 shown]
	s_and_saveexec_b32 s35, s0
	s_cbranch_execz .LBB9_54
; %bb.53:                               ;   in Loop: Header=BB9_43 Depth=2
	v_mad_u64_u32 v[13:14], null, s34, s19, v[6:7]
	v_mad_u64_u32 v[13:14], null, v13, s19, v[7:8]
	v_mov_b32_e32 v14, v27
	v_lshlrev_b64 v[13:14], 3, v[13:14]
	v_add_co_u32 v13, vcc_lo, s12, v13
	v_add_co_ci_u32_e64 v14, null, s13, v14, vcc_lo
	global_load_dwordx2 v[13:14], v[13:14], off
.LBB9_54:                               ;   in Loop: Header=BB9_43 Depth=2
	s_or_b32 exec_lo, exec_lo, s35
	s_andn2_b32 vcc_lo, exec_lo, s27
	s_waitcnt vmcnt(0)
	ds_write_b64 v21, v[13:14]
	s_waitcnt lgkmcnt(0)
	s_waitcnt_vscnt null, 0x0
	buffer_gl0_inv
	s_cbranch_vccnz .LBB9_57
; %bb.55:                               ;   in Loop: Header=BB9_43 Depth=2
	v_mov_b32_e32 v11, 0
	v_mov_b32_e32 v12, 0
	;; [unrolled: 1-line block ×4, first 2 shown]
	s_mov_b32 s35, s19
.LBB9_56:                               ;   Parent Loop BB9_12 Depth=1
                                        ;     Parent Loop BB9_43 Depth=2
                                        ; =>    This Inner Loop Header: Depth=3
	ds_read_b64 v[29:30], v13
	ds_read_b64 v[31:32], v14
	v_add_nc_u32_e32 v14, 8, v14
	v_add_nc_u32_e32 v13, 0x48, v13
	s_add_i32 s35, s35, -1
	s_cmp_eq_u32 s35, 0
	s_waitcnt lgkmcnt(0)
	v_fma_f64 v[11:12], v[29:30], v[31:32], v[11:12]
	s_cbranch_scc0 .LBB9_56
.LBB9_57:                               ;   in Loop: Header=BB9_43 Depth=2
	s_and_saveexec_b32 s35, s0
	s_cbranch_execz .LBB9_41
; %bb.58:                               ;   in Loop: Header=BB9_43 Depth=2
	v_mad_u64_u32 v[13:14], null, v28, s19, v[6:7]
	v_mad_u64_u32 v[13:14], null, v13, s19, v[7:8]
	v_mov_b32_e32 v14, v27
	v_lshlrev_b64 v[13:14], 3, v[13:14]
	v_add_co_u32 v13, vcc_lo, s12, v13
	v_add_co_ci_u32_e64 v14, null, s13, v14, vcc_lo
	global_load_dwordx2 v[28:29], v[13:14], off
	s_waitcnt vmcnt(0)
	v_add_f64 v[11:12], v[28:29], -v[11:12]
	global_store_dwordx2 v[13:14], v[11:12], off
	s_branch .LBB9_41
.LBB9_59:
	s_ashr_i32 s27, s26, 31
	v_mov_b32_e32 v6, 0
	s_lshl_b64 s[0:1], s[26:27], 2
	s_add_u32 s0, s10, s0
	s_addc_u32 s1, s11, s1
	global_load_dword v6, v6, s[0:1]
	s_waitcnt vmcnt(0)
	v_subrev_nc_u32_e32 v6, s24, v6
	v_cmp_ne_u32_e32 vcc_lo, s18, v6
	s_cbranch_vccnz .LBB9_85
; %bb.60:
	v_mov_b32_e32 v6, 0
	v_mov_b32_e32 v7, 0
	v_cmp_gt_u32_e64 s0, s19, v16
	s_and_saveexec_b32 s1, s0
	s_cbranch_execz .LBB9_62
; %bb.61:
	s_cmp_eq_u32 s28, 0
	s_cselect_b32 vcc_lo, -1, 0
	v_cndmask_b32_e32 v6, v1, v0, vcc_lo
	v_mad_u64_u32 v[6:7], null, s26, s19, v[6:7]
	v_cndmask_b32_e32 v7, v0, v1, vcc_lo
	v_mad_u64_u32 v[6:7], null, v6, s19, v[7:8]
	v_mov_b32_e32 v7, 0
	v_lshlrev_b64 v[6:7], 3, v[6:7]
	v_add_co_u32 v6, vcc_lo, s12, v6
	v_add_co_ci_u32_e64 v7, null, s13, v7, vcc_lo
	global_load_dwordx2 v[6:7], v[6:7], off
.LBB9_62:
	s_or_b32 exec_lo, exec_lo, s1
	v_mad_u32_u24 v10, 0x48, v1, v18
	s_cmp_lt_i32 s19, 1
	s_waitcnt vmcnt(0)
	ds_write_b64 v10, v[6:7]
	s_waitcnt lgkmcnt(0)
	s_waitcnt_vscnt null, 0x0
	buffer_gl0_inv
	s_cbranch_scc1 .LBB9_82
; %bb.63:
	v_cvt_f64_f32_e32 v[6:7], v19
	v_or_b32_e32 v8, v0, v1
	s_cmp_eq_u64 s[16:17], 8
	v_cmp_eq_u32_e64 s1, 0, v1
	s_cselect_b32 vcc_lo, -1, 0
	v_add3_u32 v11, v17, v18, 0x50
	v_mad_u32_u24 v12, 0x48, v1, 0x48
	v_add_nc_u32_e32 v13, 1, v0
	v_add_nc_u32_e32 v14, 8, v18
	v_cmp_eq_u32_e64 s2, 0, v8
	v_mov_b32_e32 v19, v15
	s_mov_b32 s3, 0
	s_mov_b32 s4, s19
	;; [unrolled: 1-line block ×3, first 2 shown]
	v_cndmask_b32_e32 v5, v7, v5, vcc_lo
	v_cndmask_b32_e32 v4, v6, v4, vcc_lo
.LBB9_64:                               ; =>This Inner Loop Header: Depth=1
	v_mov_b32_e32 v6, s3
	s_andn2_b32 vcc_lo, exec_lo, s36
	s_mov_b32 s8, 0
	s_mov_b32 s9, -1
	s_waitcnt lgkmcnt(0)
	ds_read_b64 v[8:9], v6
                                        ; implicit-def: $vgpr6_vgpr7
	s_cbranch_vccz .LBB9_71
; %bb.65:                               ;   in Loop: Header=BB9_64 Depth=1
	s_andn2_b32 vcc_lo, exec_lo, s9
	s_mov_b32 s9, 0
	s_cbranch_vccz .LBB9_74
.LBB9_66:                               ;   in Loop: Header=BB9_64 Depth=1
	s_andn2_b32 vcc_lo, exec_lo, s8
                                        ; implicit-def: $sgpr8
	s_cbranch_vccz .LBB9_75
.LBB9_67:                               ;   in Loop: Header=BB9_64 Depth=1
	s_andn2_b32 vcc_lo, exec_lo, s9
	s_cbranch_vccnz .LBB9_69
.LBB9_68:                               ;   in Loop: Header=BB9_64 Depth=1
	s_add_i32 s8, s5, 1
	s_mov_b32 s33, -1
.LBB9_69:                               ;   in Loop: Header=BB9_64 Depth=1
	v_add_nc_u32_e32 v11, 0x50, v11
	v_add_nc_u32_e32 v12, 0x50, v12
	;; [unrolled: 1-line block ×5, first 2 shown]
	s_add_i32 s4, s4, -1
	s_addk_i32 s3, 0x50
	s_cmp_eq_u32 s4, 0
	s_cbranch_scc1 .LBB9_82
; %bb.70:                               ;   in Loop: Header=BB9_64 Depth=1
	s_mov_b32 s5, s8
	s_branch .LBB9_64
.LBB9_71:                               ;   in Loop: Header=BB9_64 Depth=1
	s_waitcnt lgkmcnt(0)
	v_cmp_ge_f64_e64 vcc_lo, v[4:5], |v[8:9]|
	buffer_gl0_inv
	v_cndmask_b32_e32 v7, v9, v3, vcc_lo
	v_cndmask_b32_e32 v6, v8, v2, vcc_lo
	s_and_saveexec_b32 s8, s2
; %bb.72:                               ;   in Loop: Header=BB9_64 Depth=1
	v_mov_b32_e32 v20, s3
	ds_write_b64 v20, v[6:7]
; %bb.73:                               ;   in Loop: Header=BB9_64 Depth=1
	s_or_b32 exec_lo, exec_lo, s8
	s_mov_b32 s8, -1
	s_mov_b32 s9, 0
	s_cbranch_execnz .LBB9_66
.LBB9_74:                               ;   in Loop: Header=BB9_64 Depth=1
	s_waitcnt lgkmcnt(0)
	v_cmp_neq_f64_e64 s8, 0, v[8:9]
	v_mov_b32_e32 v6, v8
	v_mov_b32_e32 v7, v9
	s_mov_b32 s9, -1
	s_andn2_b32 vcc_lo, exec_lo, s8
                                        ; implicit-def: $sgpr8
	s_cbranch_vccnz .LBB9_67
.LBB9_75:                               ;   in Loop: Header=BB9_64 Depth=1
	s_mov_b32 s8, exec_lo
	v_cmpx_gt_i32_e64 s19, v13
	s_cbranch_execz .LBB9_80
; %bb.76:                               ;   in Loop: Header=BB9_64 Depth=1
	s_waitcnt lgkmcnt(0)
	ds_read_b64 v[8:9], v14
	s_waitcnt lgkmcnt(0)
	buffer_gl0_inv
	v_div_scale_f64 v[20:21], null, v[6:7], v[6:7], v[8:9]
	v_rcp_f64_e32 v[22:23], v[20:21]
	v_fma_f64 v[24:25], -v[20:21], v[22:23], 1.0
	v_fma_f64 v[22:23], v[22:23], v[24:25], v[22:23]
	v_fma_f64 v[24:25], -v[20:21], v[22:23], 1.0
	v_fma_f64 v[22:23], v[22:23], v[24:25], v[22:23]
	v_div_scale_f64 v[24:25], vcc_lo, v[8:9], v[6:7], v[8:9]
	v_mul_f64 v[26:27], v[24:25], v[22:23]
	v_fma_f64 v[20:21], -v[20:21], v[26:27], v[24:25]
	v_div_fmas_f64 v[20:21], v[20:21], v[22:23], v[26:27]
	v_div_fixup_f64 v[6:7], v[20:21], v[6:7], v[8:9]
	s_and_saveexec_b32 s9, s1
; %bb.77:                               ;   in Loop: Header=BB9_64 Depth=1
	ds_write_b64 v14, v[6:7]
; %bb.78:                               ;   in Loop: Header=BB9_64 Depth=1
	s_or_b32 exec_lo, exec_lo, s9
	v_cmp_gt_i32_e32 vcc_lo, s19, v19
	s_and_b32 exec_lo, exec_lo, vcc_lo
	s_cbranch_execz .LBB9_80
; %bb.79:                               ;   in Loop: Header=BB9_64 Depth=1
	ds_read_b64 v[8:9], v12
	ds_read_b64 v[20:21], v11
	s_waitcnt lgkmcnt(0)
	v_fma_f64 v[6:7], -v[6:7], v[8:9], v[20:21]
	ds_write_b64 v11, v[6:7]
.LBB9_80:                               ;   in Loop: Header=BB9_64 Depth=1
	s_or_b32 exec_lo, exec_lo, s8
	s_add_i32 s8, s5, 1
	s_cbranch_execz .LBB9_68
	s_branch .LBB9_69
.LBB9_81:
	s_mov_b32 s33, -1
	s_branch .LBB9_109
.LBB9_82:
	s_waitcnt lgkmcnt(0)
	buffer_gl0_inv
	s_and_saveexec_b32 s1, s0
	s_cbranch_execz .LBB9_84
; %bb.83:
	s_cmp_eq_u32 s28, 0
	s_cselect_b32 vcc_lo, -1, 0
	v_cndmask_b32_e32 v2, v1, v0, vcc_lo
	v_mad_u64_u32 v[2:3], null, s26, s19, v[2:3]
	v_cndmask_b32_e32 v3, v0, v1, vcc_lo
	v_mad_u64_u32 v[2:3], null, v2, s19, v[3:4]
	ds_read_b64 v[4:5], v10
	v_mov_b32_e32 v3, 0
	v_lshlrev_b64 v[2:3], 3, v[2:3]
	v_add_co_u32 v2, vcc_lo, s12, v2
	v_add_co_ci_u32_e64 v3, null, s13, v3, vcc_lo
	s_waitcnt lgkmcnt(0)
	global_store_dwordx2 v[2:3], v[4:5], off
.LBB9_84:
	s_or_b32 exec_lo, exec_lo, s1
.LBB9_85:
	s_add_i32 s1, s26, 1
	s_cmp_ge_i32 s1, s25
	s_cbranch_scc1 .LBB9_109
; %bb.86:
	s_cmp_eq_u32 s28, 0
	v_lshlrev_b32_e32 v8, 3, v1
	s_cselect_b32 vcc_lo, -1, 0
	s_cmp_gt_i32 s19, 0
	v_mul_u32_u24_e32 v5, 0x48, v0
	s_cselect_b32 s2, -1, 0
	s_add_i32 s4, s19, -1
	s_and_b32 s3, s19, 3
	s_movk_i32 s8, 0x240
	s_cmp_gt_u32 s4, 2
	v_add3_u32 v7, v17, v18, 0x240
	v_cmp_gt_u32_e64 s0, s19, v16
	v_cndmask_b32_e32 v2, v1, v0, vcc_lo
	v_cndmask_b32_e32 v3, v0, v1, vcc_lo
	s_cselect_b32 s4, -1, 0
	s_and_b32 s5, s19, 0x7ffffffc
	v_mad_u32_u24 v9, 0x48, v0, s8
	v_add_nc_u32_e32 v4, 8, v8
	v_add3_u32 v10, v5, v8, 0x248
	v_mov_b32_e32 v11, 0
	s_cmp_lg_u32 s3, 0
	s_cselect_b32 s8, -1, 0
	s_branch .LBB9_88
.LBB9_87:                               ;   in Loop: Header=BB9_88 Depth=1
	s_or_b32 exec_lo, exec_lo, s9
	s_add_i32 s1, s1, 1
	s_cmp_lt_i32 s1, s25
	s_cbranch_scc0 .LBB9_109
.LBB9_88:                               ; =>This Loop Header: Depth=1
                                        ;     Child Loop BB9_94 Depth 2
                                        ;     Child Loop BB9_105 Depth 2
	v_mov_b32_e32 v5, 0
	v_mov_b32_e32 v6, 0
	s_waitcnt lgkmcnt(0)
	s_waitcnt_vscnt null, 0x0
	buffer_gl0_inv
	s_and_saveexec_b32 s9, s0
	s_cbranch_execz .LBB9_90
; %bb.89:                               ;   in Loop: Header=BB9_88 Depth=1
	v_mad_u64_u32 v[5:6], null, s1, s19, v[2:3]
	v_mad_u64_u32 v[5:6], null, v5, s19, v[3:4]
	v_mov_b32_e32 v6, v11
	v_lshlrev_b64 v[5:6], 3, v[5:6]
	v_add_co_u32 v5, vcc_lo, s12, v5
	v_add_co_ci_u32_e64 v6, null, s13, v6, vcc_lo
	global_load_dwordx2 v[5:6], v[5:6], off
.LBB9_90:                               ;   in Loop: Header=BB9_88 Depth=1
	s_or_b32 exec_lo, exec_lo, s9
	s_andn2_b32 vcc_lo, exec_lo, s2
	s_waitcnt vmcnt(0)
	ds_write_b64 v7, v[5:6]
	s_waitcnt lgkmcnt(0)
	buffer_gl0_inv
	s_cbranch_vccnz .LBB9_107
; %bb.91:                               ;   in Loop: Header=BB9_88 Depth=1
	s_andn2_b32 vcc_lo, exec_lo, s4
	s_mov_b32 s11, 0
	s_cbranch_vccnz .LBB9_102
; %bb.92:                               ;   in Loop: Header=BB9_88 Depth=1
	v_mov_b32_e32 v5, v9
	s_mov_b32 s9, 0
	s_mov_b32 s10, 8
	s_branch .LBB9_94
.LBB9_93:                               ;   in Loop: Header=BB9_94 Depth=2
	s_or_b32 exec_lo, exec_lo, s11
	v_add_nc_u32_e32 v5, 32, v5
	s_add_i32 s9, s9, 4
	s_addk_i32 s10, 0x140
	s_cmp_eq_u32 s5, s9
	s_mov_b32 s11, s5
	s_cbranch_scc1 .LBB9_102
.LBB9_94:                               ;   Parent Loop BB9_88 Depth=1
                                        ; =>  This Inner Loop Header: Depth=2
	v_add_nc_u32_e32 v13, s9, v1
	v_add_nc_u32_e32 v12, s10, v8
	v_add_nc_u32_e32 v6, 1, v13
	v_cmp_gt_i32_e32 vcc_lo, s19, v6
	v_add_nc_u32_e32 v6, v5, v8
	s_and_saveexec_b32 s11, vcc_lo
	s_cbranch_execz .LBB9_96
; %bb.95:                               ;   in Loop: Header=BB9_94 Depth=2
	ds_read_b64 v[16:17], v12
	ds_read_b64 v[18:19], v5
	ds_read_b64 v[20:21], v6 offset:8
	s_waitcnt lgkmcnt(0)
	v_fma_f64 v[16:17], -v[16:17], v[18:19], v[20:21]
	ds_write_b64 v6, v[16:17] offset:8
.LBB9_96:                               ;   in Loop: Header=BB9_94 Depth=2
	s_or_b32 exec_lo, exec_lo, s11
	v_add_nc_u32_e32 v14, 2, v13
	s_mov_b32 s11, exec_lo
	v_cmpx_gt_i32_e64 s19, v14
	s_cbranch_execz .LBB9_98
; %bb.97:                               ;   in Loop: Header=BB9_94 Depth=2
	ds_read_b64 v[16:17], v12 offset:80
	ds_read_b64 v[18:19], v5 offset:8
	;; [unrolled: 1-line block ×3, first 2 shown]
	s_waitcnt lgkmcnt(0)
	v_fma_f64 v[16:17], -v[16:17], v[18:19], v[20:21]
	ds_write_b64 v6, v[16:17] offset:16
.LBB9_98:                               ;   in Loop: Header=BB9_94 Depth=2
	s_or_b32 exec_lo, exec_lo, s11
	v_add_nc_u32_e32 v14, 3, v13
	s_mov_b32 s11, exec_lo
	v_cmpx_gt_i32_e64 s19, v14
	s_cbranch_execz .LBB9_100
; %bb.99:                               ;   in Loop: Header=BB9_94 Depth=2
	ds_read_b64 v[16:17], v12 offset:160
	ds_read_b64 v[18:19], v5 offset:16
	;; [unrolled: 1-line block ×3, first 2 shown]
	s_waitcnt lgkmcnt(0)
	v_fma_f64 v[16:17], -v[16:17], v[18:19], v[20:21]
	ds_write_b64 v6, v[16:17] offset:24
.LBB9_100:                              ;   in Loop: Header=BB9_94 Depth=2
	s_or_b32 exec_lo, exec_lo, s11
	v_add_nc_u32_e32 v13, 4, v13
	s_mov_b32 s11, exec_lo
	v_cmpx_gt_i32_e64 s19, v13
	s_cbranch_execz .LBB9_93
; %bb.101:                              ;   in Loop: Header=BB9_94 Depth=2
	ds_read_b64 v[12:13], v12 offset:240
	ds_read_b64 v[16:17], v5 offset:24
	;; [unrolled: 1-line block ×3, first 2 shown]
	s_waitcnt lgkmcnt(0)
	v_fma_f64 v[12:13], -v[12:13], v[16:17], v[18:19]
	ds_write_b64 v6, v[12:13] offset:32
	s_branch .LBB9_93
.LBB9_102:                              ;   in Loop: Header=BB9_88 Depth=1
	s_andn2_b32 vcc_lo, exec_lo, s8
	s_cbranch_vccnz .LBB9_107
; %bb.103:                              ;   in Loop: Header=BB9_88 Depth=1
	v_mad_u64_u32 v[5:6], null, 0x50, s11, v[4:5]
	s_lshl_b32 s9, s11, 3
	v_add_nc_u32_e32 v13, s11, v15
	v_add_nc_u32_e32 v6, s9, v10
	;; [unrolled: 1-line block ×3, first 2 shown]
	s_mov_b32 s9, s3
	s_branch .LBB9_105
	.p2align	6
.LBB9_104:                              ;   in Loop: Header=BB9_105 Depth=2
	s_or_b32 exec_lo, exec_lo, s10
	v_add_nc_u32_e32 v5, 0x50, v5
	v_add_nc_u32_e32 v6, 8, v6
	;; [unrolled: 1-line block ×4, first 2 shown]
	s_add_i32 s9, s9, -1
	s_cmp_lg_u32 s9, 0
	s_cbranch_scc0 .LBB9_107
.LBB9_105:                              ;   Parent Loop BB9_88 Depth=1
                                        ; =>  This Inner Loop Header: Depth=2
	s_mov_b32 s10, exec_lo
	v_cmpx_gt_i32_e64 s19, v13
	s_cbranch_execz .LBB9_104
; %bb.106:                              ;   in Loop: Header=BB9_105 Depth=2
	ds_read_b64 v[16:17], v5
	ds_read_b64 v[18:19], v12
	;; [unrolled: 1-line block ×3, first 2 shown]
	s_waitcnt lgkmcnt(0)
	v_fma_f64 v[16:17], -v[16:17], v[18:19], v[20:21]
	ds_write_b64 v6, v[16:17]
	s_branch .LBB9_104
.LBB9_107:                              ;   in Loop: Header=BB9_88 Depth=1
	s_waitcnt lgkmcnt(0)
	buffer_gl0_inv
	s_and_saveexec_b32 s9, s0
	s_cbranch_execz .LBB9_87
; %bb.108:                              ;   in Loop: Header=BB9_88 Depth=1
	v_mad_u64_u32 v[5:6], null, s1, s19, v[2:3]
	ds_read_b64 v[12:13], v7
	v_mad_u64_u32 v[5:6], null, v5, s19, v[3:4]
	v_mov_b32_e32 v6, v11
	v_lshlrev_b64 v[5:6], 3, v[5:6]
	v_add_co_u32 v5, vcc_lo, s12, v5
	v_add_co_ci_u32_e64 v6, null, s13, v6, vcc_lo
	s_waitcnt lgkmcnt(0)
	global_store_dwordx2 v[5:6], v[12:13], off
	s_branch .LBB9_87
.LBB9_109:
	v_or_b32_e32 v0, v0, v1
	s_mov_b32 s0, exec_lo
	v_cmpx_eq_u32_e32 0, v0
	s_cbranch_execz .LBB9_113
; %bb.110:
	v_mov_b32_e32 v0, 0
	v_mov_b32_e32 v1, 1
	s_add_u32 s0, s20, s22
	s_addc_u32 s1, s21, s23
	s_andn2_b32 vcc_lo, exec_lo, s33
	s_waitcnt vmcnt(0) lgkmcnt(0)
	s_waitcnt_vscnt null, 0x0
	global_store_dword v0, v1, s[0:1]
	s_cbranch_vccnz .LBB9_113
; %bb.111:
	v_mbcnt_lo_u32_b32 v0, exec_lo, 0
	v_cmp_eq_u32_e32 vcc_lo, 0, v0
	s_and_b32 exec_lo, exec_lo, vcc_lo
	s_cbranch_execz .LBB9_113
; %bb.112:
	s_add_i32 s0, s18, s24
	v_mov_b32_e32 v0, 0
	v_mov_b32_e32 v1, s0
	global_atomic_smin v0, v1, s[6:7]
.LBB9_113:
	s_endpgm
	.section	.rodata,"a",@progbits
	.p2align	6, 0x0
	.amdhsa_kernel _ZN9rocsparseL11bsrilu0_2_8ILj64ELj64ELj8EdEEv20rocsparse_direction_iPKiS3_PT2_S3_iPiS3_S6_21rocsparse_index_base_imNS_24const_host_device_scalarIfEENS8_IdEENS8_IS4_EEb
		.amdhsa_group_segment_fixed_size 1152
		.amdhsa_private_segment_fixed_size 0
		.amdhsa_kernarg_size 376
		.amdhsa_user_sgpr_count 6
		.amdhsa_user_sgpr_private_segment_buffer 1
		.amdhsa_user_sgpr_dispatch_ptr 0
		.amdhsa_user_sgpr_queue_ptr 0
		.amdhsa_user_sgpr_kernarg_segment_ptr 1
		.amdhsa_user_sgpr_dispatch_id 0
		.amdhsa_user_sgpr_flat_scratch_init 0
		.amdhsa_user_sgpr_private_segment_size 0
		.amdhsa_wavefront_size32 1
		.amdhsa_uses_dynamic_stack 0
		.amdhsa_system_sgpr_private_segment_wavefront_offset 0
		.amdhsa_system_sgpr_workgroup_id_x 1
		.amdhsa_system_sgpr_workgroup_id_y 0
		.amdhsa_system_sgpr_workgroup_id_z 0
		.amdhsa_system_sgpr_workgroup_info 0
		.amdhsa_system_vgpr_workitem_id 1
		.amdhsa_next_free_vgpr 38
		.amdhsa_next_free_sgpr 42
		.amdhsa_reserve_vcc 1
		.amdhsa_reserve_flat_scratch 0
		.amdhsa_float_round_mode_32 0
		.amdhsa_float_round_mode_16_64 0
		.amdhsa_float_denorm_mode_32 3
		.amdhsa_float_denorm_mode_16_64 3
		.amdhsa_dx10_clamp 1
		.amdhsa_ieee_mode 1
		.amdhsa_fp16_overflow 0
		.amdhsa_workgroup_processor_mode 1
		.amdhsa_memory_ordered 1
		.amdhsa_forward_progress 1
		.amdhsa_shared_vgpr_count 0
		.amdhsa_exception_fp_ieee_invalid_op 0
		.amdhsa_exception_fp_denorm_src 0
		.amdhsa_exception_fp_ieee_div_zero 0
		.amdhsa_exception_fp_ieee_overflow 0
		.amdhsa_exception_fp_ieee_underflow 0
		.amdhsa_exception_fp_ieee_inexact 0
		.amdhsa_exception_int_div_zero 0
	.end_amdhsa_kernel
	.section	.text._ZN9rocsparseL11bsrilu0_2_8ILj64ELj64ELj8EdEEv20rocsparse_direction_iPKiS3_PT2_S3_iPiS3_S6_21rocsparse_index_base_imNS_24const_host_device_scalarIfEENS8_IdEENS8_IS4_EEb,"axG",@progbits,_ZN9rocsparseL11bsrilu0_2_8ILj64ELj64ELj8EdEEv20rocsparse_direction_iPKiS3_PT2_S3_iPiS3_S6_21rocsparse_index_base_imNS_24const_host_device_scalarIfEENS8_IdEENS8_IS4_EEb,comdat
.Lfunc_end9:
	.size	_ZN9rocsparseL11bsrilu0_2_8ILj64ELj64ELj8EdEEv20rocsparse_direction_iPKiS3_PT2_S3_iPiS3_S6_21rocsparse_index_base_imNS_24const_host_device_scalarIfEENS8_IdEENS8_IS4_EEb, .Lfunc_end9-_ZN9rocsparseL11bsrilu0_2_8ILj64ELj64ELj8EdEEv20rocsparse_direction_iPKiS3_PT2_S3_iPiS3_S6_21rocsparse_index_base_imNS_24const_host_device_scalarIfEENS8_IdEENS8_IS4_EEb
                                        ; -- End function
	.set _ZN9rocsparseL11bsrilu0_2_8ILj64ELj64ELj8EdEEv20rocsparse_direction_iPKiS3_PT2_S3_iPiS3_S6_21rocsparse_index_base_imNS_24const_host_device_scalarIfEENS8_IdEENS8_IS4_EEb.num_vgpr, 38
	.set _ZN9rocsparseL11bsrilu0_2_8ILj64ELj64ELj8EdEEv20rocsparse_direction_iPKiS3_PT2_S3_iPiS3_S6_21rocsparse_index_base_imNS_24const_host_device_scalarIfEENS8_IdEENS8_IS4_EEb.num_agpr, 0
	.set _ZN9rocsparseL11bsrilu0_2_8ILj64ELj64ELj8EdEEv20rocsparse_direction_iPKiS3_PT2_S3_iPiS3_S6_21rocsparse_index_base_imNS_24const_host_device_scalarIfEENS8_IdEENS8_IS4_EEb.numbered_sgpr, 42
	.set _ZN9rocsparseL11bsrilu0_2_8ILj64ELj64ELj8EdEEv20rocsparse_direction_iPKiS3_PT2_S3_iPiS3_S6_21rocsparse_index_base_imNS_24const_host_device_scalarIfEENS8_IdEENS8_IS4_EEb.num_named_barrier, 0
	.set _ZN9rocsparseL11bsrilu0_2_8ILj64ELj64ELj8EdEEv20rocsparse_direction_iPKiS3_PT2_S3_iPiS3_S6_21rocsparse_index_base_imNS_24const_host_device_scalarIfEENS8_IdEENS8_IS4_EEb.private_seg_size, 0
	.set _ZN9rocsparseL11bsrilu0_2_8ILj64ELj64ELj8EdEEv20rocsparse_direction_iPKiS3_PT2_S3_iPiS3_S6_21rocsparse_index_base_imNS_24const_host_device_scalarIfEENS8_IdEENS8_IS4_EEb.uses_vcc, 1
	.set _ZN9rocsparseL11bsrilu0_2_8ILj64ELj64ELj8EdEEv20rocsparse_direction_iPKiS3_PT2_S3_iPiS3_S6_21rocsparse_index_base_imNS_24const_host_device_scalarIfEENS8_IdEENS8_IS4_EEb.uses_flat_scratch, 0
	.set _ZN9rocsparseL11bsrilu0_2_8ILj64ELj64ELj8EdEEv20rocsparse_direction_iPKiS3_PT2_S3_iPiS3_S6_21rocsparse_index_base_imNS_24const_host_device_scalarIfEENS8_IdEENS8_IS4_EEb.has_dyn_sized_stack, 0
	.set _ZN9rocsparseL11bsrilu0_2_8ILj64ELj64ELj8EdEEv20rocsparse_direction_iPKiS3_PT2_S3_iPiS3_S6_21rocsparse_index_base_imNS_24const_host_device_scalarIfEENS8_IdEENS8_IS4_EEb.has_recursion, 0
	.set _ZN9rocsparseL11bsrilu0_2_8ILj64ELj64ELj8EdEEv20rocsparse_direction_iPKiS3_PT2_S3_iPiS3_S6_21rocsparse_index_base_imNS_24const_host_device_scalarIfEENS8_IdEENS8_IS4_EEb.has_indirect_call, 0
	.section	.AMDGPU.csdata,"",@progbits
; Kernel info:
; codeLenInByte = 4192
; TotalNumSgprs: 44
; NumVgprs: 38
; ScratchSize: 0
; MemoryBound: 0
; FloatMode: 240
; IeeeMode: 1
; LDSByteSize: 1152 bytes/workgroup (compile time only)
; SGPRBlocks: 0
; VGPRBlocks: 4
; NumSGPRsForWavesPerEU: 44
; NumVGPRsForWavesPerEU: 38
; Occupancy: 16
; WaveLimiterHint : 1
; COMPUTE_PGM_RSRC2:SCRATCH_EN: 0
; COMPUTE_PGM_RSRC2:USER_SGPR: 6
; COMPUTE_PGM_RSRC2:TRAP_HANDLER: 0
; COMPUTE_PGM_RSRC2:TGID_X_EN: 1
; COMPUTE_PGM_RSRC2:TGID_Y_EN: 0
; COMPUTE_PGM_RSRC2:TGID_Z_EN: 0
; COMPUTE_PGM_RSRC2:TIDIG_COMP_CNT: 1
	.section	.text._ZN9rocsparseL12bsrilu0_9_32ILj64ELj64ELj16EdEEv20rocsparse_direction_iPKiS3_PT2_S3_iPiS3_S6_21rocsparse_index_base_imNS_24const_host_device_scalarIfEENS8_IdEENS8_IS4_EEb,"axG",@progbits,_ZN9rocsparseL12bsrilu0_9_32ILj64ELj64ELj16EdEEv20rocsparse_direction_iPKiS3_PT2_S3_iPiS3_S6_21rocsparse_index_base_imNS_24const_host_device_scalarIfEENS8_IdEENS8_IS4_EEb,comdat
	.globl	_ZN9rocsparseL12bsrilu0_9_32ILj64ELj64ELj16EdEEv20rocsparse_direction_iPKiS3_PT2_S3_iPiS3_S6_21rocsparse_index_base_imNS_24const_host_device_scalarIfEENS8_IdEENS8_IS4_EEb ; -- Begin function _ZN9rocsparseL12bsrilu0_9_32ILj64ELj64ELj16EdEEv20rocsparse_direction_iPKiS3_PT2_S3_iPiS3_S6_21rocsparse_index_base_imNS_24const_host_device_scalarIfEENS8_IdEENS8_IS4_EEb
	.p2align	8
	.type	_ZN9rocsparseL12bsrilu0_9_32ILj64ELj64ELj16EdEEv20rocsparse_direction_iPKiS3_PT2_S3_iPiS3_S6_21rocsparse_index_base_imNS_24const_host_device_scalarIfEENS8_IdEENS8_IS4_EEb,@function
_ZN9rocsparseL12bsrilu0_9_32ILj64ELj64ELj16EdEEv20rocsparse_direction_iPKiS3_PT2_S3_iPiS3_S6_21rocsparse_index_base_imNS_24const_host_device_scalarIfEENS8_IdEENS8_IS4_EEb: ; @_ZN9rocsparseL12bsrilu0_9_32ILj64ELj64ELj16EdEEv20rocsparse_direction_iPKiS3_PT2_S3_iPiS3_S6_21rocsparse_index_base_imNS_24const_host_device_scalarIfEENS8_IdEENS8_IS4_EEb
; %bb.0:
	s_clause 0x2
	s_load_dword s0, s[4:5], 0x70
	s_load_dwordx2 s[24:25], s[4:5], 0x48
	s_load_dwordx8 s[16:23], s[4:5], 0x50
	s_waitcnt lgkmcnt(0)
	s_bitcmp1_b32 s0, 0
	s_cselect_b32 s0, -1, 0
	s_cmp_eq_u32 s25, 0
	s_cselect_b32 s2, -1, 0
	s_cmp_lg_u32 s25, 0
	s_cselect_b32 s36, -1, 0
	s_or_b32 s7, s2, s0
	s_xor_b32 s3, s7, -1
	s_and_b32 s0, s2, exec_lo
	s_cselect_b32 s1, 0, s21
	s_cselect_b32 s0, 0, s20
	s_and_b32 vcc_lo, exec_lo, s7
	s_cbranch_vccnz .LBB10_2
; %bb.1:
	s_load_dword s0, s[18:19], 0x0
	s_waitcnt lgkmcnt(0)
	v_mov_b32_e32 v14, s0
	s_mov_b64 s[0:1], s[20:21]
	s_branch .LBB10_3
.LBB10_2:
	v_cndmask_b32_e64 v14, s18, 0, s2
.LBB10_3:
	v_mov_b32_e32 v5, s1
	v_cndmask_b32_e64 v2, 0, 1, s3
	v_mov_b32_e32 v4, s0
	s_andn2_b32 vcc_lo, exec_lo, s3
	s_cbranch_vccnz .LBB10_5
; %bb.4:
	v_mov_b32_e32 v3, s20
	v_mov_b32_e32 v4, s21
	flat_load_dwordx2 v[4:5], v[3:4]
.LBB10_5:
	s_and_b32 s0, s2, exec_lo
	s_cselect_b32 s1, 0, s23
	v_cmp_ne_u32_e32 vcc_lo, 1, v2
	s_cselect_b32 s0, 0, s22
	v_mov_b32_e32 v3, s1
	v_mov_b32_e32 v2, s0
	s_mov_b32 s7, 0
	s_cbranch_vccnz .LBB10_7
; %bb.6:
	v_mov_b32_e32 v2, s22
	v_mov_b32_e32 v3, s23
	flat_load_dwordx2 v[2:3], v[2:3]
.LBB10_7:
	s_clause 0x1
	s_load_dwordx4 s[20:23], s[4:5], 0x30
	s_load_dwordx2 s[18:19], s[4:5], 0x40
	s_lshl_b64 s[0:1], s[6:7], 2
	s_waitcnt lgkmcnt(0)
	s_add_u32 s0, s22, s0
	s_addc_u32 s1, s23, s1
	s_load_dword s22, s[0:1], 0x0
	s_load_dwordx8 s[8:15], s[4:5], 0x8
	s_waitcnt lgkmcnt(0)
	s_ashr_i32 s23, s22, 31
	s_lshl_b64 s[26:27], s[22:23], 2
	s_add_u32 s0, s14, s26
	s_addc_u32 s1, s15, s27
	s_load_dword s28, s[0:1], 0x0
	s_waitcnt lgkmcnt(0)
	s_cmp_eq_u32 s28, -1
	s_cbranch_scc1 .LBB10_104
; %bb.8:
	s_add_u32 s0, s8, s26
	s_addc_u32 s1, s9, s27
	s_mov_b32 s23, 0
	s_load_dwordx2 s[0:1], s[0:1], 0x0
	s_clause 0x1
	s_load_dwordx2 s[30:31], s[4:5], 0x0
	s_load_dword s25, s[4:5], 0x28
	s_waitcnt lgkmcnt(0)
	s_sub_i32 s34, s0, s24
	s_sub_i32 s33, s1, s24
	s_cmp_ge_i32 s34, s28
	s_cbranch_scc1 .LBB10_93
; %bb.9:
	v_lshlrev_b32_e32 v6, 4, v1
	v_mad_u64_u32 v[9:10], null, s25, s34, v[0:1]
	v_lshlrev_b32_e32 v11, 3, v0
	s_cmp_lg_u32 s30, 0
	v_add3_u32 v6, v6, v0, s34
	v_cmp_gt_i32_e64 s0, s25, v0
	v_cmp_le_i32_e64 s1, s25, v0
	v_mad_u32_u24 v16, 0x88, v1, v11
	v_mul_lo_u32 v17, s25, v9
	v_ashrrev_i32_e32 v7, 31, v6
	v_cmp_gt_i32_e64 s2, s25, v1
	v_cmp_eq_u32_e64 s3, 0, v1
	v_add_nc_u32_e32 v15, 1, v1
	v_cmp_gt_i32_e64 s4, s33, v6
	v_lshlrev_b64 v[7:8], 2, v[6:7]
	v_mul_u32_u24_e32 v18, 0x88, v1
	v_add_nc_u32_e32 v19, 0x880, v16
	v_add_nc_u32_e32 v20, 0x908, v16
	v_mad_u32_u24 v21, 0x88, v1, 0x88
	v_add_nc_u32_e32 v22, 0x880, v11
	v_add_co_u32 v7, vcc_lo, s10, v7
	v_add_co_ci_u32_e64 v8, null, s11, v8, vcc_lo
	v_mov_b32_e32 v23, 0
	s_cselect_b32 s29, -1, 0
	s_cmp_gt_i32 s25, 0
	s_mul_i32 s38, s25, s25
	s_cselect_b32 s37, -1, 0
	s_add_i32 s31, s31, 1
	s_lshl_b32 s39, s25, 4
	s_branch .LBB10_12
.LBB10_10:                              ;   in Loop: Header=BB10_12 Depth=1
	s_mov_b32 s23, -1
.LBB10_11:                              ;   in Loop: Header=BB10_12 Depth=1
	s_add_i32 s34, s34, 1
	v_add_nc_u32_e32 v17, s38, v17
	s_cmp_lt_i32 s34, s28
	s_cselect_b32 s6, -1, 0
	s_and_b32 s5, s5, s6
	s_and_b32 vcc_lo, exec_lo, s5
	s_cbranch_vccz .LBB10_93
.LBB10_12:                              ; =>This Loop Header: Depth=1
                                        ;     Child Loop BB10_15 Depth 2
                                        ;       Child Loop BB10_18 Depth 3
                                        ;     Child Loop BB10_24 Depth 2
                                        ;     Child Loop BB10_28 Depth 2
                                        ;       Child Loop BB10_31 Depth 3
                                        ;     Child Loop BB10_38 Depth 2
                                        ;       Child Loop BB10_41 Depth 3
                                        ;         Child Loop BB10_45 Depth 4
                                        ;     Child Loop BB10_49 Depth 2
                                        ;       Child Loop BB10_52 Depth 3
                                        ;     Child Loop BB10_61 Depth 2
                                        ;       Child Loop BB10_66 Depth 3
                                        ;       Child Loop BB10_75 Depth 3
                                        ;         Child Loop BB10_78 Depth 4
                                        ;       Child Loop BB10_84 Depth 3
                                        ;         Child Loop BB10_87 Depth 4
                                        ;           Child Loop BB10_88 Depth 5
	s_ashr_i32 s35, s34, 31
	s_lshl_b64 s[6:7], s[34:35], 2
	s_add_u32 s6, s10, s6
	s_addc_u32 s7, s11, s7
	global_load_dword v9, v23, s[6:7]
	s_waitcnt vmcnt(0)
	v_readfirstlane_b32 s5, v9
	s_and_saveexec_b32 s6, s0
	s_cbranch_execz .LBB10_22
; %bb.13:                               ;   in Loop: Header=BB10_12 Depth=1
	v_mov_b32_e32 v12, v19
	v_mov_b32_e32 v13, v17
	;; [unrolled: 1-line block ×3, first 2 shown]
	s_mul_i32 s7, s34, s25
	s_mov_b32 s35, 0
	s_inst_prefetch 0x1
	s_branch .LBB10_15
	.p2align	6
.LBB10_14:                              ;   in Loop: Header=BB10_15 Depth=2
	s_or_b32 exec_lo, exec_lo, s40
	v_add_nc_u32_e32 v9, 16, v9
	v_add_nc_u32_e32 v13, s39, v13
	;; [unrolled: 1-line block ×3, first 2 shown]
	v_cmp_le_i32_e32 vcc_lo, s25, v9
	s_or_b32 s35, vcc_lo, s35
	s_andn2_b32 exec_lo, exec_lo, s35
	s_cbranch_execz .LBB10_22
.LBB10_15:                              ;   Parent Loop BB10_12 Depth=1
                                        ; =>  This Loop Header: Depth=2
                                        ;       Child Loop BB10_18 Depth 3
	s_and_saveexec_b32 s40, s2
	s_cbranch_execz .LBB10_14
; %bb.16:                               ;   in Loop: Header=BB10_15 Depth=2
	v_mov_b32_e32 v24, v12
	v_mov_b32_e32 v25, v1
	s_mov_b32 s41, 0
	s_branch .LBB10_18
	.p2align	6
.LBB10_17:                              ;   in Loop: Header=BB10_18 Depth=3
	v_ashrrev_i32_e32 v11, 31, v10
	v_add_nc_u32_e32 v25, 4, v25
	v_lshlrev_b64 v[10:11], 3, v[10:11]
	v_add_co_u32 v10, vcc_lo, s12, v10
	v_add_co_ci_u32_e64 v11, null, s13, v11, vcc_lo
	v_cmp_le_i32_e32 vcc_lo, s25, v25
	global_load_dwordx2 v[10:11], v[10:11], off
	s_or_b32 s41, vcc_lo, s41
	s_waitcnt vmcnt(0)
	ds_write_b64 v24, v[10:11]
	v_add_nc_u32_e32 v24, 0x220, v24
	s_andn2_b32 exec_lo, exec_lo, s41
	s_cbranch_execz .LBB10_14
.LBB10_18:                              ;   Parent Loop BB10_12 Depth=1
                                        ;     Parent Loop BB10_15 Depth=2
                                        ; =>    This Inner Loop Header: Depth=3
	s_and_b32 vcc_lo, exec_lo, s29
	s_cbranch_vccz .LBB10_20
; %bb.19:                               ;   in Loop: Header=BB10_18 Depth=3
	v_add_nc_u32_e32 v10, s7, v25
	v_mad_u64_u32 v[10:11], null, v10, s25, v[9:10]
	s_cbranch_execnz .LBB10_17
	s_branch .LBB10_21
	.p2align	6
.LBB10_20:                              ;   in Loop: Header=BB10_18 Depth=3
                                        ; implicit-def: $vgpr10
.LBB10_21:                              ;   in Loop: Header=BB10_18 Depth=3
	v_add_nc_u32_e32 v10, v13, v25
	s_branch .LBB10_17
.LBB10_22:                              ;   in Loop: Header=BB10_12 Depth=1
	s_inst_prefetch 0x2
	s_or_b32 exec_lo, exec_lo, s6
	s_sub_i32 s6, s5, s24
	s_ashr_i32 s7, s6, 31
	s_lshl_b64 s[6:7], s[6:7], 2
	s_add_u32 s40, s14, s6
	s_addc_u32 s41, s15, s7
	global_load_dword v9, v23, s[40:41]
	s_waitcnt vmcnt(0)
	v_cmp_eq_u32_e32 vcc_lo, -1, v9
	v_readfirstlane_b32 s35, v9
	v_cmp_ne_u32_e64 s5, -1, v9
	s_cbranch_vccnz .LBB10_10
; %bb.23:                               ;   in Loop: Header=BB10_12 Depth=1
	s_add_u32 s40, s8, s6
	s_addc_u32 s41, s9, s7
	s_add_u32 s6, s20, s6
	global_load_dword v9, v23, s[40:41] offset:4
	s_addc_u32 s7, s21, s7
	s_waitcnt vmcnt(0)
	v_readfirstlane_b32 s40, v9
.LBB10_24:                              ;   Parent Loop BB10_12 Depth=1
                                        ; =>  This Inner Loop Header: Depth=2
	global_load_dword v9, v23, s[6:7] glc dlc
	s_waitcnt vmcnt(0)
	v_cmp_eq_u32_e32 vcc_lo, 0, v9
	s_cbranch_vccnz .LBB10_24
; %bb.25:                               ;   in Loop: Header=BB10_12 Depth=1
	s_waitcnt lgkmcnt(0)
	buffer_gl1_inv
	buffer_gl0_inv
	s_and_saveexec_b32 s6, s0
	s_cbranch_execz .LBB10_35
; %bb.26:                               ;   in Loop: Header=BB10_12 Depth=1
	s_mul_i32 s7, s35, s25
	v_mov_b32_e32 v13, v16
	v_add_nc_u32_e32 v9, s7, v0
	s_mov_b32 s41, 0
	v_mul_lo_u32 v12, s25, v9
	v_mov_b32_e32 v9, v0
	s_inst_prefetch 0x1
	s_branch .LBB10_28
	.p2align	6
.LBB10_27:                              ;   in Loop: Header=BB10_28 Depth=2
	s_or_b32 exec_lo, exec_lo, s42
	v_add_nc_u32_e32 v9, 16, v9
	v_add_nc_u32_e32 v12, s39, v12
	;; [unrolled: 1-line block ×3, first 2 shown]
	v_cmp_le_i32_e32 vcc_lo, s25, v9
	s_or_b32 s41, vcc_lo, s41
	s_andn2_b32 exec_lo, exec_lo, s41
	s_cbranch_execz .LBB10_35
.LBB10_28:                              ;   Parent Loop BB10_12 Depth=1
                                        ; =>  This Loop Header: Depth=2
                                        ;       Child Loop BB10_31 Depth 3
	s_and_saveexec_b32 s42, s2
	s_cbranch_execz .LBB10_27
; %bb.29:                               ;   in Loop: Header=BB10_28 Depth=2
	v_mov_b32_e32 v24, v13
	v_mov_b32_e32 v25, v1
	s_mov_b32 s43, 0
	s_branch .LBB10_31
	.p2align	6
.LBB10_30:                              ;   in Loop: Header=BB10_31 Depth=3
	v_ashrrev_i32_e32 v11, 31, v10
	v_add_nc_u32_e32 v25, 4, v25
	v_lshlrev_b64 v[10:11], 3, v[10:11]
	v_add_co_u32 v10, vcc_lo, s12, v10
	v_add_co_ci_u32_e64 v11, null, s13, v11, vcc_lo
	v_cmp_le_i32_e32 vcc_lo, s25, v25
	global_load_dwordx2 v[10:11], v[10:11], off
	s_or_b32 s43, vcc_lo, s43
	s_waitcnt vmcnt(0)
	ds_write_b64 v24, v[10:11]
	v_add_nc_u32_e32 v24, 0x220, v24
	s_andn2_b32 exec_lo, exec_lo, s43
	s_cbranch_execz .LBB10_27
.LBB10_31:                              ;   Parent Loop BB10_12 Depth=1
                                        ;     Parent Loop BB10_28 Depth=2
                                        ; =>    This Inner Loop Header: Depth=3
	s_and_b32 vcc_lo, exec_lo, s29
	s_cbranch_vccz .LBB10_33
; %bb.32:                               ;   in Loop: Header=BB10_31 Depth=3
	v_add_nc_u32_e32 v10, s7, v25
	v_mad_u64_u32 v[10:11], null, v10, s25, v[9:10]
	s_cbranch_execnz .LBB10_30
	s_branch .LBB10_34
	.p2align	6
.LBB10_33:                              ;   in Loop: Header=BB10_31 Depth=3
                                        ; implicit-def: $vgpr10
.LBB10_34:                              ;   in Loop: Header=BB10_31 Depth=3
	v_add_nc_u32_e32 v10, v12, v25
	s_branch .LBB10_30
.LBB10_35:                              ;   in Loop: Header=BB10_12 Depth=1
	s_inst_prefetch 0x2
	s_or_b32 exec_lo, exec_lo, s6
	s_andn2_b32 vcc_lo, exec_lo, s37
	s_waitcnt lgkmcnt(0)
	buffer_gl0_inv
	s_cbranch_vccnz .LBB10_46
; %bb.36:                               ;   in Loop: Header=BB10_12 Depth=1
	v_mov_b32_e32 v13, v21
	v_mov_b32_e32 v24, v20
	s_mov_b32 s7, 0
	s_branch .LBB10_38
.LBB10_37:                              ;   in Loop: Header=BB10_38 Depth=2
	s_or_b32 exec_lo, exec_lo, s41
	v_add_nc_u32_e32 v24, 0x88, v24
	v_add_nc_u32_e32 v13, 0x90, v13
	s_add_i32 s7, s7, 1
	s_waitcnt lgkmcnt(0)
	buffer_gl0_inv
	s_cmp_eq_u32 s7, s25
	s_cbranch_scc1 .LBB10_46
.LBB10_38:                              ;   Parent Loop BB10_12 Depth=1
                                        ; =>  This Loop Header: Depth=2
                                        ;       Child Loop BB10_41 Depth 3
                                        ;         Child Loop BB10_45 Depth 4
	s_and_saveexec_b32 s41, s0
	s_cbranch_execz .LBB10_37
; %bb.39:                               ;   in Loop: Header=BB10_38 Depth=2
	s_mul_i32 s42, s7, 0x88
	s_lshl_b32 s6, s7, 3
	v_add_nc_u32_e32 v25, s7, v15
	s_add_i32 s6, s42, s6
	v_mov_b32_e32 v26, v24
	v_mov_b32_e32 v9, s6
	;; [unrolled: 1-line block ×3, first 2 shown]
	v_cmp_gt_i32_e64 s6, s25, v25
	s_addk_i32 s42, 0x880
	s_mov_b32 s43, 0
	ds_read_b64 v[9:10], v9
	s_branch .LBB10_41
.LBB10_40:                              ;   in Loop: Header=BB10_41 Depth=3
	s_or_b32 exec_lo, exec_lo, s44
	v_add_nc_u32_e32 v27, 16, v27
	v_add_nc_u32_e32 v26, 0x80, v26
	v_cmp_le_i32_e32 vcc_lo, s25, v27
	s_or_b32 s43, vcc_lo, s43
	s_andn2_b32 exec_lo, exec_lo, s43
	s_cbranch_execz .LBB10_37
.LBB10_41:                              ;   Parent Loop BB10_12 Depth=1
                                        ;     Parent Loop BB10_38 Depth=2
                                        ; =>    This Loop Header: Depth=3
                                        ;         Child Loop BB10_45 Depth 4
	v_lshl_add_u32 v28, v27, 3, s42
	ds_read_b64 v[11:12], v28
	s_waitcnt lgkmcnt(0)
	buffer_gl0_inv
	v_div_scale_f64 v[29:30], null, v[9:10], v[9:10], v[11:12]
	v_rcp_f64_e32 v[31:32], v[29:30]
	v_fma_f64 v[33:34], -v[29:30], v[31:32], 1.0
	v_fma_f64 v[31:32], v[31:32], v[33:34], v[31:32]
	v_fma_f64 v[33:34], -v[29:30], v[31:32], 1.0
	v_fma_f64 v[31:32], v[31:32], v[33:34], v[31:32]
	v_div_scale_f64 v[33:34], vcc_lo, v[11:12], v[9:10], v[11:12]
	v_mul_f64 v[35:36], v[33:34], v[31:32]
	v_fma_f64 v[29:30], -v[29:30], v[35:36], v[33:34]
	v_div_fmas_f64 v[29:30], v[29:30], v[31:32], v[35:36]
	v_div_fixup_f64 v[11:12], v[29:30], v[9:10], v[11:12]
	s_and_saveexec_b32 s44, s3
; %bb.42:                               ;   in Loop: Header=BB10_41 Depth=3
	ds_write_b64 v28, v[11:12]
; %bb.43:                               ;   in Loop: Header=BB10_41 Depth=3
	s_or_b32 exec_lo, exec_lo, s44
	s_and_saveexec_b32 s44, s6
	s_cbranch_execz .LBB10_40
; %bb.44:                               ;   in Loop: Header=BB10_41 Depth=3
	v_mov_b32_e32 v28, v13
	v_mov_b32_e32 v29, v26
	;; [unrolled: 1-line block ×3, first 2 shown]
	s_mov_b32 s45, 0
	.p2align	6
.LBB10_45:                              ;   Parent Loop BB10_12 Depth=1
                                        ;     Parent Loop BB10_38 Depth=2
                                        ;       Parent Loop BB10_41 Depth=3
                                        ; =>      This Inner Loop Header: Depth=4
	ds_read_b64 v[31:32], v28
	ds_read_b64 v[33:34], v29
	v_add_nc_u32_e32 v30, 4, v30
	v_add_nc_u32_e32 v28, 0x220, v28
	v_cmp_le_i32_e32 vcc_lo, s25, v30
	s_or_b32 s45, vcc_lo, s45
	s_waitcnt lgkmcnt(0)
	v_fma_f64 v[31:32], -v[11:12], v[31:32], v[33:34]
	ds_write_b64 v29, v[31:32]
	v_add_nc_u32_e32 v29, 0x220, v29
	s_andn2_b32 exec_lo, exec_lo, s45
	s_cbranch_execnz .LBB10_45
	s_branch .LBB10_40
.LBB10_46:                              ;   in Loop: Header=BB10_12 Depth=1
	s_and_saveexec_b32 s7, s0
	s_cbranch_execz .LBB10_56
; %bb.47:                               ;   in Loop: Header=BB10_12 Depth=1
	v_mov_b32_e32 v24, v19
	v_mov_b32_e32 v25, v17
	;; [unrolled: 1-line block ×3, first 2 shown]
	s_mul_i32 s41, s34, s25
	s_mov_b32 s42, 0
	s_inst_prefetch 0x1
	s_branch .LBB10_49
	.p2align	6
.LBB10_48:                              ;   in Loop: Header=BB10_49 Depth=2
	s_or_b32 exec_lo, exec_lo, s43
	v_add_nc_u32_e32 v9, 16, v9
	v_add_nc_u32_e32 v25, s39, v25
	;; [unrolled: 1-line block ×3, first 2 shown]
	v_cmp_le_i32_e32 vcc_lo, s25, v9
	s_or_b32 s42, vcc_lo, s42
	s_andn2_b32 exec_lo, exec_lo, s42
	s_cbranch_execz .LBB10_56
.LBB10_49:                              ;   Parent Loop BB10_12 Depth=1
                                        ; =>  This Loop Header: Depth=2
                                        ;       Child Loop BB10_52 Depth 3
	s_and_saveexec_b32 s43, s2
	s_cbranch_execz .LBB10_48
; %bb.50:                               ;   in Loop: Header=BB10_49 Depth=2
	v_mov_b32_e32 v26, v24
	v_mov_b32_e32 v27, v1
	s_mov_b32 s44, 0
	s_branch .LBB10_52
	.p2align	6
.LBB10_51:                              ;   in Loop: Header=BB10_52 Depth=3
	v_ashrrev_i32_e32 v13, 31, v12
	v_add_nc_u32_e32 v27, 4, v27
	v_add_nc_u32_e32 v26, 0x220, v26
	v_lshlrev_b64 v[12:13], 3, v[12:13]
	v_cmp_le_i32_e32 vcc_lo, s25, v27
	s_or_b32 s44, vcc_lo, s44
	v_add_co_u32 v12, s6, s12, v12
	v_add_co_ci_u32_e64 v13, null, s13, v13, s6
	s_waitcnt lgkmcnt(0)
	global_store_dwordx2 v[12:13], v[10:11], off
	s_andn2_b32 exec_lo, exec_lo, s44
	s_cbranch_execz .LBB10_48
.LBB10_52:                              ;   Parent Loop BB10_12 Depth=1
                                        ;     Parent Loop BB10_49 Depth=2
                                        ; =>    This Inner Loop Header: Depth=3
	ds_read_b64 v[10:11], v26
	s_and_b32 vcc_lo, exec_lo, s29
	s_cbranch_vccz .LBB10_54
; %bb.53:                               ;   in Loop: Header=BB10_52 Depth=3
	v_add_nc_u32_e32 v12, s41, v27
	s_waitcnt lgkmcnt(0)
	v_mad_u64_u32 v[12:13], null, v12, s25, v[9:10]
	s_cbranch_execnz .LBB10_51
	s_branch .LBB10_55
	.p2align	6
.LBB10_54:                              ;   in Loop: Header=BB10_52 Depth=3
                                        ; implicit-def: $vgpr12
.LBB10_55:                              ;   in Loop: Header=BB10_52 Depth=3
	v_add_nc_u32_e32 v12, v25, v27
	s_branch .LBB10_51
.LBB10_56:                              ;   in Loop: Header=BB10_12 Depth=1
	s_inst_prefetch 0x2
	s_or_b32 exec_lo, exec_lo, s7
	s_sub_i32 s40, s40, s24
	s_add_i32 s6, s35, 1
	s_cmp_ge_i32 s6, s40
	s_cbranch_scc1 .LBB10_11
; %bb.57:                               ;   in Loop: Header=BB10_12 Depth=1
	v_mad_u64_u32 v[9:10], null, s25, s6, v[0:1]
	v_mul_lo_u32 v24, s25, v9
	s_branch .LBB10_61
.LBB10_58:                              ;   in Loop: Header=BB10_61 Depth=2
	s_or_b32 exec_lo, exec_lo, s35
.LBB10_59:                              ;   in Loop: Header=BB10_61 Depth=2
	s_or_b32 exec_lo, exec_lo, s7
.LBB10_60:                              ;   in Loop: Header=BB10_61 Depth=2
	v_add_nc_u32_e32 v24, s38, v24
	s_add_i32 s6, s6, 1
	s_waitcnt lgkmcnt(0)
	s_waitcnt_vscnt null, 0x0
	buffer_gl0_inv
	s_cmp_lt_i32 s6, s40
	s_cbranch_scc0 .LBB10_11
.LBB10_61:                              ;   Parent Loop BB10_12 Depth=1
                                        ; =>  This Loop Header: Depth=2
                                        ;       Child Loop BB10_66 Depth 3
                                        ;       Child Loop BB10_75 Depth 3
                                        ;         Child Loop BB10_78 Depth 4
                                        ;       Child Loop BB10_84 Depth 3
                                        ;         Child Loop BB10_87 Depth 4
                                        ;           Child Loop BB10_88 Depth 5
	s_ashr_i32 s7, s6, 31
	v_mov_b32_e32 v10, s31
	s_lshl_b64 s[42:43], s[6:7], 2
	s_add_u32 s42, s10, s42
	s_addc_u32 s43, s11, s43
	global_load_dword v9, v23, s[42:43]
	s_and_saveexec_b32 s7, s4
	s_cbranch_execz .LBB10_63
; %bb.62:                               ;   in Loop: Header=BB10_61 Depth=2
	global_load_dword v10, v[7:8], off
	s_waitcnt vmcnt(0)
	v_subrev_nc_u32_e32 v10, s24, v10
.LBB10_63:                              ;   in Loop: Header=BB10_61 Depth=2
	s_or_b32 exec_lo, exec_lo, s7
	s_waitcnt vmcnt(0)
	v_subrev_nc_u32_e32 v11, s24, v9
	v_mov_b32_e32 v12, v6
	s_mov_b32 s7, exec_lo
	v_cmpx_lt_i32_e64 v10, v11
	s_cbranch_execz .LBB10_69
; %bb.64:                               ;   in Loop: Header=BB10_61 Depth=2
	v_mov_b32_e32 v9, v6
	s_mov_b32 s35, 0
	s_branch .LBB10_66
	.p2align	6
.LBB10_65:                              ;   in Loop: Header=BB10_66 Depth=3
	s_or_b32 exec_lo, exec_lo, s41
	v_cmp_ge_i32_e32 vcc_lo, v10, v11
	v_mov_b32_e32 v9, v12
	s_or_b32 s35, vcc_lo, s35
	s_andn2_b32 exec_lo, exec_lo, s35
	s_cbranch_execz .LBB10_68
.LBB10_66:                              ;   Parent Loop BB10_12 Depth=1
                                        ;     Parent Loop BB10_61 Depth=2
                                        ; =>    This Inner Loop Header: Depth=3
	v_add_nc_u32_e32 v12, 64, v9
	v_mov_b32_e32 v10, s31
	s_mov_b32 s41, exec_lo
	v_cmpx_gt_i32_e64 s33, v12
	s_cbranch_execz .LBB10_65
; %bb.67:                               ;   in Loop: Header=BB10_66 Depth=3
	v_ashrrev_i32_e32 v10, 31, v9
	v_lshlrev_b64 v[9:10], 2, v[9:10]
	v_add_co_u32 v9, vcc_lo, s10, v9
	v_add_co_ci_u32_e64 v10, null, s11, v10, vcc_lo
	global_load_dword v9, v[9:10], off offset:256
	s_waitcnt vmcnt(0)
	v_subrev_nc_u32_e32 v10, s24, v9
	s_branch .LBB10_65
.LBB10_68:                              ;   in Loop: Header=BB10_61 Depth=2
	s_or_b32 exec_lo, exec_lo, s35
.LBB10_69:                              ;   in Loop: Header=BB10_61 Depth=2
	s_or_b32 exec_lo, exec_lo, s7
	v_cmp_eq_u32_e32 vcc_lo, v10, v11
	s_cbranch_vccz .LBB10_60
; %bb.70:                               ;   in Loop: Header=BB10_61 Depth=2
	s_ff1_i32_b32 s7, vcc_lo
	s_lshl_b32 s7, s7, 2
	v_mov_b32_e32 v9, s7
	ds_bpermute_b32 v12, v9, v12
	s_and_saveexec_b32 s7, s1
	s_xor_b32 s7, exec_lo, s7
	s_cbranch_execz .LBB10_72
; %bb.71:                               ;   in Loop: Header=BB10_61 Depth=2
	s_waitcnt lgkmcnt(0)
	s_waitcnt_vscnt null, 0x0
	buffer_gl0_inv
                                        ; implicit-def: $vgpr12
.LBB10_72:                              ;   in Loop: Header=BB10_61 Depth=2
	s_andn2_saveexec_b32 s7, s7
	s_cbranch_execz .LBB10_59
; %bb.73:                               ;   in Loop: Header=BB10_61 Depth=2
	v_mov_b32_e32 v13, v16
	v_mov_b32_e32 v25, v24
	v_mov_b32_e32 v9, v0
	s_mul_i32 s41, s6, s25
	s_mov_b32 s35, 0
	s_inst_prefetch 0x1
	s_branch .LBB10_75
	.p2align	6
.LBB10_74:                              ;   in Loop: Header=BB10_75 Depth=3
	s_or_b32 exec_lo, exec_lo, s42
	v_add_nc_u32_e32 v9, 16, v9
	v_add_nc_u32_e32 v25, s39, v25
	;; [unrolled: 1-line block ×3, first 2 shown]
	v_cmp_le_i32_e32 vcc_lo, s25, v9
	s_or_b32 s35, vcc_lo, s35
	s_andn2_b32 exec_lo, exec_lo, s35
	s_cbranch_execz .LBB10_82
.LBB10_75:                              ;   Parent Loop BB10_12 Depth=1
                                        ;     Parent Loop BB10_61 Depth=2
                                        ; =>    This Loop Header: Depth=3
                                        ;         Child Loop BB10_78 Depth 4
	s_and_saveexec_b32 s42, s2
	s_cbranch_execz .LBB10_74
; %bb.76:                               ;   in Loop: Header=BB10_75 Depth=3
	v_mov_b32_e32 v26, v13
	v_mov_b32_e32 v27, v1
	s_mov_b32 s43, 0
	s_branch .LBB10_78
	.p2align	6
.LBB10_77:                              ;   in Loop: Header=BB10_78 Depth=4
	v_ashrrev_i32_e32 v11, 31, v10
	v_add_nc_u32_e32 v27, 4, v27
	v_lshlrev_b64 v[10:11], 3, v[10:11]
	v_add_co_u32 v10, vcc_lo, s12, v10
	v_add_co_ci_u32_e64 v11, null, s13, v11, vcc_lo
	v_cmp_le_i32_e32 vcc_lo, s25, v27
	global_load_dwordx2 v[10:11], v[10:11], off
	s_or_b32 s43, vcc_lo, s43
	s_waitcnt vmcnt(0)
	ds_write_b64 v26, v[10:11]
	v_add_nc_u32_e32 v26, 0x220, v26
	s_andn2_b32 exec_lo, exec_lo, s43
	s_cbranch_execz .LBB10_74
.LBB10_78:                              ;   Parent Loop BB10_12 Depth=1
                                        ;     Parent Loop BB10_61 Depth=2
                                        ;       Parent Loop BB10_75 Depth=3
                                        ; =>      This Inner Loop Header: Depth=4
	s_and_b32 vcc_lo, exec_lo, s29
	s_cbranch_vccz .LBB10_80
; %bb.79:                               ;   in Loop: Header=BB10_78 Depth=4
	v_add_nc_u32_e32 v10, s41, v27
	v_mad_u64_u32 v[10:11], null, v10, s25, v[9:10]
	s_cbranch_execnz .LBB10_77
	s_branch .LBB10_81
	.p2align	6
.LBB10_80:                              ;   in Loop: Header=BB10_78 Depth=4
                                        ; implicit-def: $vgpr10
.LBB10_81:                              ;   in Loop: Header=BB10_78 Depth=4
	v_add_nc_u32_e32 v10, v25, v27
	s_branch .LBB10_77
.LBB10_82:                              ;   in Loop: Header=BB10_61 Depth=2
	s_inst_prefetch 0x2
	s_or_b32 exec_lo, exec_lo, s35
	s_waitcnt lgkmcnt(0)
	v_mul_lo_u32 v25, v12, s25
	v_mov_b32_e32 v26, v22
	v_mov_b32_e32 v9, v0
	s_mov_b32 s35, 0
	s_waitcnt_vscnt null, 0x0
	buffer_gl0_inv
	s_branch .LBB10_84
.LBB10_83:                              ;   in Loop: Header=BB10_84 Depth=3
	s_or_b32 exec_lo, exec_lo, s41
	v_add_nc_u32_e32 v9, 16, v9
	v_add_nc_u32_e32 v26, 0x80, v26
	v_cmp_le_i32_e32 vcc_lo, s25, v9
	s_or_b32 s35, vcc_lo, s35
	s_andn2_b32 exec_lo, exec_lo, s35
	s_cbranch_execz .LBB10_58
.LBB10_84:                              ;   Parent Loop BB10_12 Depth=1
                                        ;     Parent Loop BB10_61 Depth=2
                                        ; =>    This Loop Header: Depth=3
                                        ;         Child Loop BB10_87 Depth 4
                                        ;           Child Loop BB10_88 Depth 5
	s_and_saveexec_b32 s41, s2
	s_cbranch_execz .LBB10_83
; %bb.85:                               ;   in Loop: Header=BB10_84 Depth=3
	v_add_nc_u32_e32 v10, v9, v25
	v_mov_b32_e32 v28, v18
	v_mov_b32_e32 v29, v1
	s_mov_b32 s42, 0
	v_mul_lo_u32 v27, v10, s25
	s_branch .LBB10_87
.LBB10_86:                              ;   in Loop: Header=BB10_87 Depth=4
	v_ashrrev_i32_e32 v13, 31, v12
	v_add_nc_u32_e32 v29, 4, v29
	v_add_nc_u32_e32 v28, 0x220, v28
	v_lshlrev_b64 v[12:13], 3, v[12:13]
	v_add_co_u32 v12, vcc_lo, s12, v12
	v_add_co_ci_u32_e64 v13, null, s13, v13, vcc_lo
	v_cmp_le_i32_e32 vcc_lo, s25, v29
	global_load_dwordx2 v[30:31], v[12:13], off
	s_or_b32 s42, vcc_lo, s42
	s_waitcnt vmcnt(0)
	v_add_f64 v[10:11], v[30:31], -v[10:11]
	global_store_dwordx2 v[12:13], v[10:11], off
	s_andn2_b32 exec_lo, exec_lo, s42
	s_cbranch_execz .LBB10_83
.LBB10_87:                              ;   Parent Loop BB10_12 Depth=1
                                        ;     Parent Loop BB10_61 Depth=2
                                        ;       Parent Loop BB10_84 Depth=3
                                        ; =>      This Loop Header: Depth=4
                                        ;           Child Loop BB10_88 Depth 5
	v_mov_b32_e32 v10, 0
	v_mov_b32_e32 v11, 0
	v_mov_b32_e32 v12, v26
	v_mov_b32_e32 v13, v28
	s_mov_b32 s43, s25
.LBB10_88:                              ;   Parent Loop BB10_12 Depth=1
                                        ;     Parent Loop BB10_61 Depth=2
                                        ;       Parent Loop BB10_84 Depth=3
                                        ;         Parent Loop BB10_87 Depth=4
                                        ; =>        This Inner Loop Header: Depth=5
	ds_read_b64 v[30:31], v12
	ds_read_b64 v[32:33], v13
	v_add_nc_u32_e32 v13, 8, v13
	v_add_nc_u32_e32 v12, 0x88, v12
	s_add_i32 s43, s43, -1
	s_cmp_eq_u32 s43, 0
	s_waitcnt lgkmcnt(0)
	v_fma_f64 v[10:11], v[30:31], v[32:33], v[10:11]
	s_cbranch_scc0 .LBB10_88
; %bb.89:                               ;   in Loop: Header=BB10_87 Depth=4
	s_and_b32 vcc_lo, exec_lo, s29
	s_cbranch_vccz .LBB10_91
; %bb.90:                               ;   in Loop: Header=BB10_87 Depth=4
	v_add_nc_u32_e32 v12, v29, v25
	v_mad_u64_u32 v[12:13], null, v12, s25, v[9:10]
	s_cbranch_execnz .LBB10_86
	s_branch .LBB10_92
.LBB10_91:                              ;   in Loop: Header=BB10_87 Depth=4
                                        ; implicit-def: $vgpr12
.LBB10_92:                              ;   in Loop: Header=BB10_87 Depth=4
	v_add_nc_u32_e32 v12, v29, v27
	s_branch .LBB10_86
.LBB10_93:
	s_ashr_i32 s29, s28, 31
	v_mov_b32_e32 v6, 0
	s_lshl_b64 s[0:1], s[28:29], 2
	s_add_u32 s0, s10, s0
	s_addc_u32 s1, s11, s1
	global_load_dword v6, v6, s[0:1]
	s_waitcnt vmcnt(0)
	v_subrev_nc_u32_e32 v6, s24, v6
	v_cmp_ne_u32_e32 vcc_lo, s22, v6
	s_cbranch_vccnz .LBB10_138
; %bb.94:
	v_cmp_gt_i32_e64 s0, s25, v0
	s_and_saveexec_b32 s2, s0
	s_cbranch_execz .LBB10_105
; %bb.95:
	s_mul_i32 s3, s28, s25
	v_lshlrev_b32_e32 v7, 3, v0
	v_add_nc_u32_e32 v6, s3, v0
	v_cmp_gt_u32_e64 s1, s25, v1
	s_cmp_lg_u32 s30, 0
	s_mov_b32 s4, 0
	v_mad_u32_u24 v10, 0x88, v1, v7
	v_mul_lo_u32 v9, s25, v6
	v_mov_b32_e32 v6, v0
	s_cselect_b32 s5, -1, 0
	s_lshl_b32 s6, s25, 4
	s_inst_prefetch 0x1
	s_branch .LBB10_97
	.p2align	6
.LBB10_96:                              ;   in Loop: Header=BB10_97 Depth=1
	s_or_b32 exec_lo, exec_lo, s7
	v_add_nc_u32_e32 v6, 16, v6
	v_add_nc_u32_e32 v9, s6, v9
	;; [unrolled: 1-line block ×3, first 2 shown]
	v_cmp_le_i32_e32 vcc_lo, s25, v6
	s_or_b32 s4, vcc_lo, s4
	s_andn2_b32 exec_lo, exec_lo, s4
	s_cbranch_execz .LBB10_105
.LBB10_97:                              ; =>This Loop Header: Depth=1
                                        ;     Child Loop BB10_100 Depth 2
	s_and_saveexec_b32 s7, s1
	s_cbranch_execz .LBB10_96
; %bb.98:                               ;   in Loop: Header=BB10_97 Depth=1
	v_mov_b32_e32 v11, v10
	v_mov_b32_e32 v12, v1
	s_mov_b32 s8, 0
	s_branch .LBB10_100
	.p2align	6
.LBB10_99:                              ;   in Loop: Header=BB10_100 Depth=2
	v_ashrrev_i32_e32 v8, 31, v7
	v_add_nc_u32_e32 v12, 4, v12
	v_lshlrev_b64 v[7:8], 3, v[7:8]
	v_add_co_u32 v7, vcc_lo, s12, v7
	v_add_co_ci_u32_e64 v8, null, s13, v8, vcc_lo
	v_cmp_le_i32_e32 vcc_lo, s25, v12
	global_load_dwordx2 v[7:8], v[7:8], off
	s_or_b32 s8, vcc_lo, s8
	s_waitcnt vmcnt(0)
	ds_write_b64 v11, v[7:8]
	v_add_nc_u32_e32 v11, 0x220, v11
	s_andn2_b32 exec_lo, exec_lo, s8
	s_cbranch_execz .LBB10_96
.LBB10_100:                             ;   Parent Loop BB10_97 Depth=1
                                        ; =>  This Inner Loop Header: Depth=2
	s_and_b32 vcc_lo, exec_lo, s5
	s_cbranch_vccz .LBB10_102
; %bb.101:                              ;   in Loop: Header=BB10_100 Depth=2
	v_add_nc_u32_e32 v7, s3, v12
	v_mad_u64_u32 v[7:8], null, v7, s25, v[6:7]
	s_cbranch_execnz .LBB10_99
	s_branch .LBB10_103
	.p2align	6
.LBB10_102:                             ;   in Loop: Header=BB10_100 Depth=2
                                        ; implicit-def: $vgpr7
.LBB10_103:                             ;   in Loop: Header=BB10_100 Depth=2
	v_add_nc_u32_e32 v7, v9, v12
	s_branch .LBB10_99
.LBB10_104:
	s_mov_b32 s23, -1
	s_branch .LBB10_190
.LBB10_105:
	s_inst_prefetch 0x2
	s_or_b32 exec_lo, exec_lo, s2
	s_cmp_lt_i32 s25, 1
	s_waitcnt lgkmcnt(0)
	s_waitcnt_vscnt null, 0x0
	buffer_gl0_inv
	s_cbranch_scc1 .LBB10_127
; %bb.106:
	v_cvt_f64_f32_e32 v[6:7], v14
	v_or_b32_e32 v8, v0, v1
	v_mul_u32_u24_e32 v9, 0x88, v1
	v_lshlrev_b32_e32 v11, 3, v0
	s_cmp_eq_u64 s[16:17], 8
	v_cmp_eq_u32_e64 s1, 0, v1
	s_cselect_b32 vcc_lo, -1, 0
	v_mad_u32_u24 v10, 0x88, v1, 0x88
	v_cmp_eq_u32_e64 s2, 0, v8
	v_add3_u32 v11, v9, v11, 0x90
	s_mov_b32 s4, 0
	v_cndmask_b32_e32 v5, v7, v5, vcc_lo
	v_cndmask_b32_e32 v4, v6, v4, vcc_lo
.LBB10_107:                             ; =>This Loop Header: Depth=1
                                        ;     Child Loop BB10_119 Depth 2
                                        ;       Child Loop BB10_123 Depth 3
	s_mul_i32 s5, s4, 0x88
	s_lshl_b32 s3, s4, 3
	s_mov_b32 s7, -1
	s_add_i32 s6, s5, s3
	s_andn2_b32 vcc_lo, exec_lo, s36
	v_mov_b32_e32 v6, s6
	s_mov_b32 s3, 0
	s_waitcnt lgkmcnt(0)
	ds_read_b64 v[8:9], v6
                                        ; implicit-def: $vgpr6_vgpr7
	s_cbranch_vccz .LBB10_112
; %bb.108:                              ;   in Loop: Header=BB10_107 Depth=1
	s_andn2_b32 vcc_lo, exec_lo, s7
	s_mov_b32 s7, 0
	s_cbranch_vccz .LBB10_115
.LBB10_109:                             ;   in Loop: Header=BB10_107 Depth=1
	s_andn2_b32 vcc_lo, exec_lo, s3
                                        ; implicit-def: $sgpr6
	s_cbranch_vccz .LBB10_116
.LBB10_110:                             ;   in Loop: Header=BB10_107 Depth=1
	s_andn2_b32 vcc_lo, exec_lo, s7
	s_cbranch_vccz .LBB10_125
.LBB10_111:                             ;   in Loop: Header=BB10_107 Depth=1
	v_add_nc_u32_e32 v11, 0x90, v11
	v_add_nc_u32_e32 v10, 0x90, v10
	s_cmp_eq_u32 s6, s25
	s_cbranch_scc0 .LBB10_126
	s_branch .LBB10_127
.LBB10_112:                             ;   in Loop: Header=BB10_107 Depth=1
	s_waitcnt lgkmcnt(0)
	v_cmp_ge_f64_e64 vcc_lo, v[4:5], |v[8:9]|
	buffer_gl0_inv
	v_cndmask_b32_e32 v7, v9, v3, vcc_lo
	v_cndmask_b32_e32 v6, v8, v2, vcc_lo
	s_and_saveexec_b32 s3, s2
; %bb.113:                              ;   in Loop: Header=BB10_107 Depth=1
	v_mov_b32_e32 v12, s6
	ds_write_b64 v12, v[6:7]
; %bb.114:                              ;   in Loop: Header=BB10_107 Depth=1
	s_or_b32 exec_lo, exec_lo, s3
	s_mov_b32 s3, -1
	s_mov_b32 s7, 0
	s_cbranch_execnz .LBB10_109
.LBB10_115:                             ;   in Loop: Header=BB10_107 Depth=1
	s_waitcnt lgkmcnt(0)
	v_cmp_neq_f64_e64 s3, 0, v[8:9]
	v_mov_b32_e32 v6, v8
	v_mov_b32_e32 v7, v9
	s_mov_b32 s7, -1
	s_andn2_b32 vcc_lo, exec_lo, s3
                                        ; implicit-def: $sgpr6
	s_cbranch_vccnz .LBB10_110
.LBB10_116:                             ;   in Loop: Header=BB10_107 Depth=1
	s_add_i32 s6, s4, 1
	s_mov_b32 s7, exec_lo
	v_add_nc_u32_e32 v12, s6, v0
	v_cmpx_gt_i32_e64 s25, v12
	s_cbranch_execz .LBB10_124
; %bb.117:                              ;   in Loop: Header=BB10_107 Depth=1
	v_add_nc_u32_e32 v13, s6, v1
	v_mov_b32_e32 v14, v11
	s_mov_b32 s8, 0
	v_cmp_gt_i32_e64 s3, s25, v13
	s_branch .LBB10_119
.LBB10_118:                             ;   in Loop: Header=BB10_119 Depth=2
	s_or_b32 exec_lo, exec_lo, s9
	v_add_nc_u32_e32 v12, 16, v12
	v_add_nc_u32_e32 v14, 0x80, v14
	v_cmp_le_i32_e32 vcc_lo, s25, v12
	s_or_b32 s8, vcc_lo, s8
	s_andn2_b32 exec_lo, exec_lo, s8
	s_cbranch_execz .LBB10_124
.LBB10_119:                             ;   Parent Loop BB10_107 Depth=1
                                        ; =>  This Loop Header: Depth=2
                                        ;       Child Loop BB10_123 Depth 3
	v_lshl_add_u32 v15, v12, 3, s5
	s_waitcnt lgkmcnt(0)
	ds_read_b64 v[8:9], v15
	s_waitcnt lgkmcnt(0)
	buffer_gl0_inv
	v_div_scale_f64 v[16:17], null, v[6:7], v[6:7], v[8:9]
	v_rcp_f64_e32 v[18:19], v[16:17]
	v_fma_f64 v[20:21], -v[16:17], v[18:19], 1.0
	v_fma_f64 v[18:19], v[18:19], v[20:21], v[18:19]
	v_fma_f64 v[20:21], -v[16:17], v[18:19], 1.0
	v_fma_f64 v[18:19], v[18:19], v[20:21], v[18:19]
	v_div_scale_f64 v[20:21], vcc_lo, v[8:9], v[6:7], v[8:9]
	v_mul_f64 v[22:23], v[20:21], v[18:19]
	v_fma_f64 v[16:17], -v[16:17], v[22:23], v[20:21]
	v_div_fmas_f64 v[16:17], v[16:17], v[18:19], v[22:23]
	v_div_fixup_f64 v[8:9], v[16:17], v[6:7], v[8:9]
	s_and_saveexec_b32 s9, s1
; %bb.120:                              ;   in Loop: Header=BB10_119 Depth=2
	ds_write_b64 v15, v[8:9]
; %bb.121:                              ;   in Loop: Header=BB10_119 Depth=2
	s_or_b32 exec_lo, exec_lo, s9
	s_and_saveexec_b32 s9, s3
	s_cbranch_execz .LBB10_118
; %bb.122:                              ;   in Loop: Header=BB10_119 Depth=2
	v_mov_b32_e32 v15, v10
	v_mov_b32_e32 v16, v14
	;; [unrolled: 1-line block ×3, first 2 shown]
	s_mov_b32 s10, 0
	.p2align	6
.LBB10_123:                             ;   Parent Loop BB10_107 Depth=1
                                        ;     Parent Loop BB10_119 Depth=2
                                        ; =>    This Inner Loop Header: Depth=3
	ds_read_b64 v[18:19], v15
	ds_read_b64 v[20:21], v16
	v_add_nc_u32_e32 v17, 4, v17
	v_add_nc_u32_e32 v15, 0x220, v15
	v_cmp_le_i32_e32 vcc_lo, s25, v17
	s_or_b32 s10, vcc_lo, s10
	s_waitcnt lgkmcnt(0)
	v_fma_f64 v[18:19], -v[8:9], v[18:19], v[20:21]
	ds_write_b64 v16, v[18:19]
	v_add_nc_u32_e32 v16, 0x220, v16
	s_andn2_b32 exec_lo, exec_lo, s10
	s_cbranch_execnz .LBB10_123
	s_branch .LBB10_118
.LBB10_124:                             ;   in Loop: Header=BB10_107 Depth=1
	s_or_b32 exec_lo, exec_lo, s7
	s_cbranch_execnz .LBB10_111
.LBB10_125:                             ;   in Loop: Header=BB10_107 Depth=1
	s_add_i32 s6, s4, 1
	s_mov_b32 s23, -1
	v_add_nc_u32_e32 v11, 0x90, v11
	v_add_nc_u32_e32 v10, 0x90, v10
	s_cmp_eq_u32 s6, s25
	s_cbranch_scc1 .LBB10_127
.LBB10_126:                             ;   in Loop: Header=BB10_107 Depth=1
	s_mov_b32 s4, s6
	s_branch .LBB10_107
.LBB10_127:
	s_waitcnt lgkmcnt(0)
	buffer_gl0_inv
	s_and_saveexec_b32 s2, s0
	s_cbranch_execz .LBB10_137
; %bb.128:
	s_mul_i32 s3, s28, s25
	v_lshlrev_b32_e32 v3, 3, v0
	v_add_nc_u32_e32 v2, s3, v0
	v_cmp_gt_u32_e64 s0, s25, v1
	s_cmp_lg_u32 s30, 0
	s_mov_b32 s4, 0
	v_mad_u32_u24 v8, 0x88, v1, v3
	v_mul_lo_u32 v7, s25, v2
	v_mov_b32_e32 v2, v0
	s_cselect_b32 s5, -1, 0
	s_lshl_b32 s6, s25, 4
	s_inst_prefetch 0x1
	s_branch .LBB10_130
	.p2align	6
.LBB10_129:                             ;   in Loop: Header=BB10_130 Depth=1
	s_or_b32 exec_lo, exec_lo, s7
	v_add_nc_u32_e32 v2, 16, v2
	v_add_nc_u32_e32 v7, s6, v7
	;; [unrolled: 1-line block ×3, first 2 shown]
	v_cmp_le_i32_e32 vcc_lo, s25, v2
	s_or_b32 s4, vcc_lo, s4
	s_andn2_b32 exec_lo, exec_lo, s4
	s_cbranch_execz .LBB10_137
.LBB10_130:                             ; =>This Loop Header: Depth=1
                                        ;     Child Loop BB10_133 Depth 2
	s_and_saveexec_b32 s7, s0
	s_cbranch_execz .LBB10_129
; %bb.131:                              ;   in Loop: Header=BB10_130 Depth=1
	v_mov_b32_e32 v9, v8
	v_mov_b32_e32 v10, v1
	s_mov_b32 s8, 0
	s_branch .LBB10_133
	.p2align	6
.LBB10_132:                             ;   in Loop: Header=BB10_133 Depth=2
	v_ashrrev_i32_e32 v6, 31, v5
	v_add_nc_u32_e32 v10, 4, v10
	v_add_nc_u32_e32 v9, 0x220, v9
	v_lshlrev_b64 v[5:6], 3, v[5:6]
	v_cmp_le_i32_e32 vcc_lo, s25, v10
	s_or_b32 s8, vcc_lo, s8
	v_add_co_u32 v5, s1, s12, v5
	v_add_co_ci_u32_e64 v6, null, s13, v6, s1
	s_waitcnt lgkmcnt(0)
	global_store_dwordx2 v[5:6], v[3:4], off
	s_andn2_b32 exec_lo, exec_lo, s8
	s_cbranch_execz .LBB10_129
.LBB10_133:                             ;   Parent Loop BB10_130 Depth=1
                                        ; =>  This Inner Loop Header: Depth=2
	ds_read_b64 v[3:4], v9
	s_and_b32 vcc_lo, exec_lo, s5
	s_cbranch_vccz .LBB10_135
; %bb.134:                              ;   in Loop: Header=BB10_133 Depth=2
	v_add_nc_u32_e32 v5, s3, v10
	s_waitcnt lgkmcnt(0)
	v_mad_u64_u32 v[5:6], null, v5, s25, v[2:3]
	s_cbranch_execnz .LBB10_132
	s_branch .LBB10_136
	.p2align	6
.LBB10_135:                             ;   in Loop: Header=BB10_133 Depth=2
                                        ; implicit-def: $vgpr5
.LBB10_136:                             ;   in Loop: Header=BB10_133 Depth=2
	v_add_nc_u32_e32 v5, v7, v10
	s_branch .LBB10_132
.LBB10_137:
	s_inst_prefetch 0x2
	s_or_b32 exec_lo, exec_lo, s2
.LBB10_138:
	s_add_i32 s4, s28, 1
	s_cmp_ge_i32 s4, s33
	s_cbranch_scc1 .LBB10_190
; %bb.139:
	v_mad_u64_u32 v[2:3], null, s25, s4, v[0:1]
	v_lshlrev_b32_e32 v3, 3, v1
	s_cmp_lg_u32 s30, 0
	v_mul_u32_u24_e32 v4, 0x88, v1
	s_cselect_b32 s5, -1, 0
	s_cmp_gt_i32 s25, 0
	v_lshlrev_b32_e32 v5, 3, v0
	s_cselect_b32 s6, -1, 0
	s_cmp_lg_u32 s25, 1
	v_mad_u32_u24 v6, 0x88, v0, v3
	s_cselect_b32 s7, -1, 0
	s_and_b32 s8, s25, 0x7ffffffe
	s_bitcmp1_b32 s25, 0
	s_movk_i32 s3, 0x888
	v_cmp_gt_i32_e64 s0, s25, v0
	v_cmp_le_i32_e64 s1, s25, v0
	v_cmp_gt_i32_e64 s2, s25, v1
	v_add_nc_u32_e32 v8, 1, v1
	v_mul_lo_u32 v9, s25, v2
	v_add3_u32 v10, v4, v5, 0x880
	v_add_nc_u32_e32 v11, 0x888, v6
	v_add_nc_u32_e32 v2, 8, v3
	;; [unrolled: 1-line block ×4, first 2 shown]
	v_mad_u32_u24 v14, 0x88, v0, s3
	s_cselect_b32 s9, -1, 0
	s_mul_i32 s10, s25, s25
	s_lshl_b32 s11, s25, 4
	s_branch .LBB10_142
.LBB10_140:                             ;   in Loop: Header=BB10_142 Depth=1
	s_inst_prefetch 0x2
	s_or_b32 exec_lo, exec_lo, s15
.LBB10_141:                             ;   in Loop: Header=BB10_142 Depth=1
	s_or_b32 exec_lo, exec_lo, s14
	v_add_nc_u32_e32 v9, s10, v9
	s_add_i32 s4, s4, 1
	s_cmp_ge_i32 s4, s33
	s_cbranch_scc1 .LBB10_190
.LBB10_142:                             ; =>This Loop Header: Depth=1
                                        ;     Child Loop BB10_145 Depth 2
                                        ;       Child Loop BB10_148 Depth 3
                                        ;     Child Loop BB10_156 Depth 2
                                        ;       Child Loop BB10_159 Depth 3
                                        ;         Child Loop BB10_161 Depth 4
                                        ;       Child Loop BB10_164 Depth 3
                                        ;         Child Loop BB10_166 Depth 4
                                        ;     Child Loop BB10_173 Depth 2
                                        ;       Child Loop BB10_175 Depth 3
                                        ;     Child Loop BB10_183 Depth 2
                                        ;       Child Loop BB10_186 Depth 3
	s_waitcnt lgkmcnt(0)
	s_waitcnt_vscnt null, 0x0
	buffer_gl0_inv
	s_and_saveexec_b32 s3, s0
	s_cbranch_execz .LBB10_152
; %bb.143:                              ;   in Loop: Header=BB10_142 Depth=1
	v_mov_b32_e32 v6, v10
	v_mov_b32_e32 v7, v9
	v_mov_b32_e32 v3, v0
	s_mul_i32 s14, s4, s25
	s_mov_b32 s15, 0
	s_inst_prefetch 0x1
	s_branch .LBB10_145
	.p2align	6
.LBB10_144:                             ;   in Loop: Header=BB10_145 Depth=2
	s_or_b32 exec_lo, exec_lo, s16
	v_add_nc_u32_e32 v3, 16, v3
	v_add_nc_u32_e32 v7, s11, v7
	;; [unrolled: 1-line block ×3, first 2 shown]
	v_cmp_le_i32_e32 vcc_lo, s25, v3
	s_or_b32 s15, vcc_lo, s15
	s_andn2_b32 exec_lo, exec_lo, s15
	s_cbranch_execz .LBB10_152
.LBB10_145:                             ;   Parent Loop BB10_142 Depth=1
                                        ; =>  This Loop Header: Depth=2
                                        ;       Child Loop BB10_148 Depth 3
	s_and_saveexec_b32 s16, s2
	s_cbranch_execz .LBB10_144
; %bb.146:                              ;   in Loop: Header=BB10_145 Depth=2
	v_mov_b32_e32 v15, v6
	v_mov_b32_e32 v16, v1
	s_mov_b32 s17, 0
	s_branch .LBB10_148
	.p2align	6
.LBB10_147:                             ;   in Loop: Header=BB10_148 Depth=3
	v_ashrrev_i32_e32 v5, 31, v4
	v_add_nc_u32_e32 v16, 4, v16
	v_lshlrev_b64 v[4:5], 3, v[4:5]
	v_add_co_u32 v4, vcc_lo, s12, v4
	v_add_co_ci_u32_e64 v5, null, s13, v5, vcc_lo
	v_cmp_le_i32_e32 vcc_lo, s25, v16
	global_load_dwordx2 v[4:5], v[4:5], off
	s_or_b32 s17, vcc_lo, s17
	s_waitcnt vmcnt(0)
	ds_write_b64 v15, v[4:5]
	v_add_nc_u32_e32 v15, 0x220, v15
	s_andn2_b32 exec_lo, exec_lo, s17
	s_cbranch_execz .LBB10_144
.LBB10_148:                             ;   Parent Loop BB10_142 Depth=1
                                        ;     Parent Loop BB10_145 Depth=2
                                        ; =>    This Inner Loop Header: Depth=3
	s_and_b32 vcc_lo, exec_lo, s5
	s_cbranch_vccz .LBB10_150
; %bb.149:                              ;   in Loop: Header=BB10_148 Depth=3
	v_add_nc_u32_e32 v4, s14, v16
	v_mad_u64_u32 v[4:5], null, v4, s25, v[3:4]
	s_cbranch_execnz .LBB10_147
	s_branch .LBB10_151
	.p2align	6
.LBB10_150:                             ;   in Loop: Header=BB10_148 Depth=3
                                        ; implicit-def: $vgpr4
.LBB10_151:                             ;   in Loop: Header=BB10_148 Depth=3
	v_add_nc_u32_e32 v4, v7, v16
	s_branch .LBB10_147
.LBB10_152:                             ;   in Loop: Header=BB10_142 Depth=1
	s_inst_prefetch 0x2
	s_or_b32 exec_lo, exec_lo, s3
	s_andn2_b32 vcc_lo, exec_lo, s6
	s_waitcnt lgkmcnt(0)
	buffer_gl0_inv
	s_cbranch_vccnz .LBB10_176
; %bb.153:                              ;   in Loop: Header=BB10_142 Depth=1
	s_andn2_b32 vcc_lo, exec_lo, s7
	s_mov_b32 s3, 0
	s_cbranch_vccnz .LBB10_167
; %bb.154:                              ;   in Loop: Header=BB10_142 Depth=1
	v_mov_b32_e32 v3, v13
	v_mov_b32_e32 v4, v12
	;; [unrolled: 1-line block ×4, first 2 shown]
	s_mov_b32 s14, 0
	s_branch .LBB10_156
.LBB10_155:                             ;   in Loop: Header=BB10_156 Depth=2
	s_inst_prefetch 0x2
	s_or_b32 exec_lo, exec_lo, s15
	v_add_nc_u32_e32 v6, 16, v6
	v_add_nc_u32_e32 v5, 0x120, v5
	v_add_nc_u32_e32 v4, 0x120, v4
	v_add_nc_u32_e32 v3, 16, v3
	s_add_i32 s14, s14, 2
	s_mov_b32 s3, s8
	s_cmp_eq_u32 s14, s8
	s_cbranch_scc1 .LBB10_167
.LBB10_156:                             ;   Parent Loop BB10_142 Depth=1
                                        ; =>  This Loop Header: Depth=2
                                        ;       Child Loop BB10_159 Depth 3
                                        ;         Child Loop BB10_161 Depth 4
                                        ;       Child Loop BB10_164 Depth 3
                                        ;         Child Loop BB10_166 Depth 4
	s_and_saveexec_b32 s15, s0
	s_cbranch_execz .LBB10_155
; %bb.157:                              ;   in Loop: Header=BB10_156 Depth=2
	v_add_nc_u32_e32 v7, s14, v8
	v_mov_b32_e32 v15, v6
	v_mov_b32_e32 v16, v0
	s_mov_b32 s17, 0
	s_lshl_b32 s16, s14, 3
	v_cmp_gt_i32_e32 vcc_lo, s25, v7
	s_inst_prefetch 0x1
	s_branch .LBB10_159
	.p2align	6
.LBB10_158:                             ;   in Loop: Header=BB10_159 Depth=3
	s_or_b32 exec_lo, exec_lo, s28
	v_add_nc_u32_e32 v16, 16, v16
	v_add_nc_u32_e32 v15, 0x880, v15
	v_cmp_le_i32_e64 s3, s25, v16
	s_or_b32 s17, s3, s17
	s_andn2_b32 exec_lo, exec_lo, s17
	s_cbranch_execz .LBB10_162
.LBB10_159:                             ;   Parent Loop BB10_142 Depth=1
                                        ;     Parent Loop BB10_156 Depth=2
                                        ; =>    This Loop Header: Depth=3
                                        ;         Child Loop BB10_161 Depth 4
	s_and_saveexec_b32 s28, vcc_lo
	s_cbranch_execz .LBB10_158
; %bb.160:                              ;   in Loop: Header=BB10_159 Depth=3
	v_mul_lo_u32 v19, 0x88, v16
	v_mov_b32_e32 v17, v5
	v_mov_b32_e32 v18, v15
	;; [unrolled: 1-line block ×3, first 2 shown]
	s_mov_b32 s29, 0
	v_add3_u32 v19, 0x880, s16, v19
	.p2align	6
.LBB10_161:                             ;   Parent Loop BB10_142 Depth=1
                                        ;     Parent Loop BB10_156 Depth=2
                                        ;       Parent Loop BB10_159 Depth=3
                                        ; =>      This Inner Loop Header: Depth=4
	ds_read_b64 v[21:22], v17
	ds_read_b64 v[23:24], v19
	;; [unrolled: 1-line block ×3, first 2 shown]
	v_add_nc_u32_e32 v20, 4, v20
	v_add_nc_u32_e32 v17, 32, v17
	v_cmp_le_i32_e64 s3, s25, v20
	s_or_b32 s29, s3, s29
	s_waitcnt lgkmcnt(0)
	v_fma_f64 v[21:22], -v[21:22], v[23:24], v[25:26]
	ds_write_b64 v18, v[21:22]
	v_add_nc_u32_e32 v18, 32, v18
	s_andn2_b32 exec_lo, exec_lo, s29
	s_cbranch_execnz .LBB10_161
	s_branch .LBB10_158
.LBB10_162:                             ;   in Loop: Header=BB10_156 Depth=2
	s_inst_prefetch 0x2
	s_or_b32 exec_lo, exec_lo, s17
	v_add3_u32 v7, v8, s14, 1
	v_mov_b32_e32 v15, v3
	v_mov_b32_e32 v16, v0
	s_mov_b32 s17, 0
	v_cmp_gt_i32_e32 vcc_lo, s25, v7
	s_inst_prefetch 0x1
	s_branch .LBB10_164
	.p2align	6
.LBB10_163:                             ;   in Loop: Header=BB10_164 Depth=3
	s_or_b32 exec_lo, exec_lo, s28
	v_add_nc_u32_e32 v16, 16, v16
	v_add_nc_u32_e32 v15, 0x880, v15
	v_cmp_le_i32_e64 s3, s25, v16
	s_or_b32 s17, s3, s17
	s_andn2_b32 exec_lo, exec_lo, s17
	s_cbranch_execz .LBB10_155
.LBB10_164:                             ;   Parent Loop BB10_142 Depth=1
                                        ;     Parent Loop BB10_156 Depth=2
                                        ; =>    This Loop Header: Depth=3
                                        ;         Child Loop BB10_166 Depth 4
	s_and_saveexec_b32 s28, vcc_lo
	s_cbranch_execz .LBB10_163
; %bb.165:                              ;   in Loop: Header=BB10_164 Depth=3
	v_mul_lo_u32 v19, 0x88, v16
	v_mov_b32_e32 v17, v15
	v_mov_b32_e32 v18, v4
	;; [unrolled: 1-line block ×3, first 2 shown]
	s_mov_b32 s29, 0
	v_add3_u32 v19, 0x880, s16, v19
	.p2align	6
.LBB10_166:                             ;   Parent Loop BB10_142 Depth=1
                                        ;     Parent Loop BB10_156 Depth=2
                                        ;       Parent Loop BB10_164 Depth=3
                                        ; =>      This Inner Loop Header: Depth=4
	ds_read_b64 v[21:22], v18
	ds_read_b64 v[23:24], v19 offset:8
	ds_read_b64 v[25:26], v17
	v_add_nc_u32_e32 v20, 4, v20
	v_add_nc_u32_e32 v18, 32, v18
	v_cmp_le_i32_e64 s3, s25, v20
	s_or_b32 s29, s3, s29
	s_waitcnt lgkmcnt(0)
	v_fma_f64 v[21:22], -v[21:22], v[23:24], v[25:26]
	ds_write_b64 v17, v[21:22]
	v_add_nc_u32_e32 v17, 32, v17
	s_andn2_b32 exec_lo, exec_lo, s29
	s_cbranch_execnz .LBB10_166
	s_branch .LBB10_163
.LBB10_167:                             ;   in Loop: Header=BB10_142 Depth=1
	s_andn2_b32 vcc_lo, exec_lo, s9
	s_mov_b32 s15, -1
	s_cbranch_vccnz .LBB10_177
; %bb.168:                              ;   in Loop: Header=BB10_142 Depth=1
	s_and_saveexec_b32 s14, s1
	s_xor_b32 s14, exec_lo, s14
	s_cbranch_execz .LBB10_170
; %bb.169:                              ;   in Loop: Header=BB10_142 Depth=1
	s_waitcnt lgkmcnt(0)
	buffer_gl0_inv
.LBB10_170:                             ;   in Loop: Header=BB10_142 Depth=1
	s_or_saveexec_b32 s14, s14
	s_mov_b32 s15, 0
	s_xor_b32 exec_lo, exec_lo, s14
	s_cbranch_execz .LBB10_179
; %bb.171:                              ;   in Loop: Header=BB10_142 Depth=1
	v_add_nc_u32_e32 v6, s3, v1
	v_mad_u64_u32 v[3:4], null, 0x90, s3, v[2:3]
	v_add_nc_u32_e32 v5, s3, v8
	s_lshl_b32 s16, s3, 3
	v_lshl_add_u32 v4, v6, 3, v14
	v_mov_b32_e32 v6, v0
	v_cmp_gt_i32_e32 vcc_lo, s25, v5
	s_inst_prefetch 0x1
	s_branch .LBB10_173
	.p2align	6
.LBB10_172:                             ;   in Loop: Header=BB10_173 Depth=2
	s_or_b32 exec_lo, exec_lo, s17
	v_add_nc_u32_e32 v6, 16, v6
	v_add_nc_u32_e32 v4, 0x880, v4
	v_cmp_le_i32_e64 s3, s25, v6
	s_or_b32 s15, s3, s15
	s_andn2_b32 exec_lo, exec_lo, s15
	s_cbranch_execz .LBB10_178
.LBB10_173:                             ;   Parent Loop BB10_142 Depth=1
                                        ; =>  This Loop Header: Depth=2
                                        ;       Child Loop BB10_175 Depth 3
	s_and_saveexec_b32 s17, vcc_lo
	s_cbranch_execz .LBB10_172
; %bb.174:                              ;   in Loop: Header=BB10_173 Depth=2
	v_mul_lo_u32 v16, 0x88, v6
	v_mov_b32_e32 v7, v3
	v_mov_b32_e32 v15, v4
	;; [unrolled: 1-line block ×3, first 2 shown]
	s_mov_b32 s28, 0
	v_add3_u32 v16, 0x880, s16, v16
	.p2align	6
.LBB10_175:                             ;   Parent Loop BB10_142 Depth=1
                                        ;     Parent Loop BB10_173 Depth=2
                                        ; =>    This Inner Loop Header: Depth=3
	ds_read_b64 v[18:19], v7
	ds_read_b64 v[20:21], v16
	;; [unrolled: 1-line block ×3, first 2 shown]
	v_add_nc_u32_e32 v17, 4, v17
	v_add_nc_u32_e32 v7, 32, v7
	v_cmp_le_i32_e64 s3, s25, v17
	s_or_b32 s28, s3, s28
	s_waitcnt lgkmcnt(0)
	v_fma_f64 v[18:19], -v[18:19], v[20:21], v[22:23]
	ds_write_b64 v15, v[18:19]
	v_add_nc_u32_e32 v15, 32, v15
	s_andn2_b32 exec_lo, exec_lo, s28
	s_cbranch_execnz .LBB10_175
	s_branch .LBB10_172
.LBB10_176:                             ;   in Loop: Header=BB10_142 Depth=1
	s_mov_b32 s15, -1
.LBB10_177:                             ;   in Loop: Header=BB10_142 Depth=1
	s_and_saveexec_b32 s3, s15
	s_xor_b32 s14, exec_lo, s3
	s_cbranch_execz .LBB10_141
	s_branch .LBB10_180
.LBB10_178:                             ;   in Loop: Header=BB10_142 Depth=1
	s_inst_prefetch 0x2
	s_or_b32 exec_lo, exec_lo, s15
	s_mov_b32 s15, exec_lo
.LBB10_179:                             ;   in Loop: Header=BB10_142 Depth=1
	s_or_b32 exec_lo, exec_lo, s14
	s_and_saveexec_b32 s3, s15
	s_xor_b32 s14, exec_lo, s3
	s_cbranch_execz .LBB10_141
.LBB10_180:                             ;   in Loop: Header=BB10_142 Depth=1
	s_waitcnt lgkmcnt(0)
	buffer_gl0_inv
	s_and_saveexec_b32 s15, s0
	s_cbranch_execz .LBB10_140
; %bb.181:                              ;   in Loop: Header=BB10_142 Depth=1
	v_mov_b32_e32 v15, v10
	v_mov_b32_e32 v16, v9
	;; [unrolled: 1-line block ×3, first 2 shown]
	s_mul_i32 s16, s4, s25
	s_mov_b32 s17, 0
	s_inst_prefetch 0x1
	s_branch .LBB10_183
	.p2align	6
.LBB10_182:                             ;   in Loop: Header=BB10_183 Depth=2
	s_or_b32 exec_lo, exec_lo, s28
	v_add_nc_u32_e32 v3, 16, v3
	v_add_nc_u32_e32 v16, s11, v16
	;; [unrolled: 1-line block ×3, first 2 shown]
	v_cmp_le_i32_e32 vcc_lo, s25, v3
	s_or_b32 s17, vcc_lo, s17
	s_andn2_b32 exec_lo, exec_lo, s17
	s_cbranch_execz .LBB10_140
.LBB10_183:                             ;   Parent Loop BB10_142 Depth=1
                                        ; =>  This Loop Header: Depth=2
                                        ;       Child Loop BB10_186 Depth 3
	s_and_saveexec_b32 s28, s2
	s_cbranch_execz .LBB10_182
; %bb.184:                              ;   in Loop: Header=BB10_183 Depth=2
	v_mov_b32_e32 v17, v15
	v_mov_b32_e32 v18, v1
	s_mov_b32 s29, 0
	s_branch .LBB10_186
	.p2align	6
.LBB10_185:                             ;   in Loop: Header=BB10_186 Depth=3
	v_ashrrev_i32_e32 v7, 31, v6
	v_add_nc_u32_e32 v18, 4, v18
	v_add_nc_u32_e32 v17, 0x220, v17
	v_lshlrev_b64 v[6:7], 3, v[6:7]
	v_cmp_le_i32_e32 vcc_lo, s25, v18
	s_or_b32 s29, vcc_lo, s29
	v_add_co_u32 v6, s3, s12, v6
	v_add_co_ci_u32_e64 v7, null, s13, v7, s3
	s_waitcnt lgkmcnt(0)
	global_store_dwordx2 v[6:7], v[4:5], off
	s_andn2_b32 exec_lo, exec_lo, s29
	s_cbranch_execz .LBB10_182
.LBB10_186:                             ;   Parent Loop BB10_142 Depth=1
                                        ;     Parent Loop BB10_183 Depth=2
                                        ; =>    This Inner Loop Header: Depth=3
	ds_read_b64 v[4:5], v17
	s_and_b32 vcc_lo, exec_lo, s5
	s_cbranch_vccz .LBB10_188
; %bb.187:                              ;   in Loop: Header=BB10_186 Depth=3
	v_add_nc_u32_e32 v6, s16, v18
	s_waitcnt lgkmcnt(0)
	v_mad_u64_u32 v[6:7], null, v6, s25, v[3:4]
	s_cbranch_execnz .LBB10_185
	s_branch .LBB10_189
	.p2align	6
.LBB10_188:                             ;   in Loop: Header=BB10_186 Depth=3
                                        ; implicit-def: $vgpr6
.LBB10_189:                             ;   in Loop: Header=BB10_186 Depth=3
	v_add_nc_u32_e32 v6, v16, v18
	s_branch .LBB10_185
.LBB10_190:
	v_or_b32_e32 v0, v0, v1
	s_mov_b32 s0, exec_lo
	v_cmpx_eq_u32_e32 0, v0
	s_cbranch_execz .LBB10_194
; %bb.191:
	v_mov_b32_e32 v0, 0
	v_mov_b32_e32 v1, 1
	s_add_u32 s0, s20, s26
	s_addc_u32 s1, s21, s27
	s_andn2_b32 vcc_lo, exec_lo, s23
	s_waitcnt vmcnt(0) lgkmcnt(0)
	s_waitcnt_vscnt null, 0x0
	global_store_dword v0, v1, s[0:1]
	s_cbranch_vccnz .LBB10_194
; %bb.192:
	v_mbcnt_lo_u32_b32 v0, exec_lo, 0
	v_cmp_eq_u32_e32 vcc_lo, 0, v0
	s_and_b32 exec_lo, exec_lo, vcc_lo
	s_cbranch_execz .LBB10_194
; %bb.193:
	s_add_i32 s0, s22, s24
	v_mov_b32_e32 v0, 0
	v_mov_b32_e32 v1, s0
	global_atomic_smin v0, v1, s[18:19]
.LBB10_194:
	s_endpgm
	.section	.rodata,"a",@progbits
	.p2align	6, 0x0
	.amdhsa_kernel _ZN9rocsparseL12bsrilu0_9_32ILj64ELj64ELj16EdEEv20rocsparse_direction_iPKiS3_PT2_S3_iPiS3_S6_21rocsparse_index_base_imNS_24const_host_device_scalarIfEENS8_IdEENS8_IS4_EEb
		.amdhsa_group_segment_fixed_size 4352
		.amdhsa_private_segment_fixed_size 0
		.amdhsa_kernarg_size 116
		.amdhsa_user_sgpr_count 6
		.amdhsa_user_sgpr_private_segment_buffer 1
		.amdhsa_user_sgpr_dispatch_ptr 0
		.amdhsa_user_sgpr_queue_ptr 0
		.amdhsa_user_sgpr_kernarg_segment_ptr 1
		.amdhsa_user_sgpr_dispatch_id 0
		.amdhsa_user_sgpr_flat_scratch_init 0
		.amdhsa_user_sgpr_private_segment_size 0
		.amdhsa_wavefront_size32 1
		.amdhsa_uses_dynamic_stack 0
		.amdhsa_system_sgpr_private_segment_wavefront_offset 0
		.amdhsa_system_sgpr_workgroup_id_x 1
		.amdhsa_system_sgpr_workgroup_id_y 0
		.amdhsa_system_sgpr_workgroup_id_z 0
		.amdhsa_system_sgpr_workgroup_info 0
		.amdhsa_system_vgpr_workitem_id 1
		.amdhsa_next_free_vgpr 37
		.amdhsa_next_free_sgpr 46
		.amdhsa_reserve_vcc 1
		.amdhsa_reserve_flat_scratch 0
		.amdhsa_float_round_mode_32 0
		.amdhsa_float_round_mode_16_64 0
		.amdhsa_float_denorm_mode_32 3
		.amdhsa_float_denorm_mode_16_64 3
		.amdhsa_dx10_clamp 1
		.amdhsa_ieee_mode 1
		.amdhsa_fp16_overflow 0
		.amdhsa_workgroup_processor_mode 1
		.amdhsa_memory_ordered 1
		.amdhsa_forward_progress 1
		.amdhsa_shared_vgpr_count 0
		.amdhsa_exception_fp_ieee_invalid_op 0
		.amdhsa_exception_fp_denorm_src 0
		.amdhsa_exception_fp_ieee_div_zero 0
		.amdhsa_exception_fp_ieee_overflow 0
		.amdhsa_exception_fp_ieee_underflow 0
		.amdhsa_exception_fp_ieee_inexact 0
		.amdhsa_exception_int_div_zero 0
	.end_amdhsa_kernel
	.section	.text._ZN9rocsparseL12bsrilu0_9_32ILj64ELj64ELj16EdEEv20rocsparse_direction_iPKiS3_PT2_S3_iPiS3_S6_21rocsparse_index_base_imNS_24const_host_device_scalarIfEENS8_IdEENS8_IS4_EEb,"axG",@progbits,_ZN9rocsparseL12bsrilu0_9_32ILj64ELj64ELj16EdEEv20rocsparse_direction_iPKiS3_PT2_S3_iPiS3_S6_21rocsparse_index_base_imNS_24const_host_device_scalarIfEENS8_IdEENS8_IS4_EEb,comdat
.Lfunc_end10:
	.size	_ZN9rocsparseL12bsrilu0_9_32ILj64ELj64ELj16EdEEv20rocsparse_direction_iPKiS3_PT2_S3_iPiS3_S6_21rocsparse_index_base_imNS_24const_host_device_scalarIfEENS8_IdEENS8_IS4_EEb, .Lfunc_end10-_ZN9rocsparseL12bsrilu0_9_32ILj64ELj64ELj16EdEEv20rocsparse_direction_iPKiS3_PT2_S3_iPiS3_S6_21rocsparse_index_base_imNS_24const_host_device_scalarIfEENS8_IdEENS8_IS4_EEb
                                        ; -- End function
	.set _ZN9rocsparseL12bsrilu0_9_32ILj64ELj64ELj16EdEEv20rocsparse_direction_iPKiS3_PT2_S3_iPiS3_S6_21rocsparse_index_base_imNS_24const_host_device_scalarIfEENS8_IdEENS8_IS4_EEb.num_vgpr, 37
	.set _ZN9rocsparseL12bsrilu0_9_32ILj64ELj64ELj16EdEEv20rocsparse_direction_iPKiS3_PT2_S3_iPiS3_S6_21rocsparse_index_base_imNS_24const_host_device_scalarIfEENS8_IdEENS8_IS4_EEb.num_agpr, 0
	.set _ZN9rocsparseL12bsrilu0_9_32ILj64ELj64ELj16EdEEv20rocsparse_direction_iPKiS3_PT2_S3_iPiS3_S6_21rocsparse_index_base_imNS_24const_host_device_scalarIfEENS8_IdEENS8_IS4_EEb.numbered_sgpr, 46
	.set _ZN9rocsparseL12bsrilu0_9_32ILj64ELj64ELj16EdEEv20rocsparse_direction_iPKiS3_PT2_S3_iPiS3_S6_21rocsparse_index_base_imNS_24const_host_device_scalarIfEENS8_IdEENS8_IS4_EEb.num_named_barrier, 0
	.set _ZN9rocsparseL12bsrilu0_9_32ILj64ELj64ELj16EdEEv20rocsparse_direction_iPKiS3_PT2_S3_iPiS3_S6_21rocsparse_index_base_imNS_24const_host_device_scalarIfEENS8_IdEENS8_IS4_EEb.private_seg_size, 0
	.set _ZN9rocsparseL12bsrilu0_9_32ILj64ELj64ELj16EdEEv20rocsparse_direction_iPKiS3_PT2_S3_iPiS3_S6_21rocsparse_index_base_imNS_24const_host_device_scalarIfEENS8_IdEENS8_IS4_EEb.uses_vcc, 1
	.set _ZN9rocsparseL12bsrilu0_9_32ILj64ELj64ELj16EdEEv20rocsparse_direction_iPKiS3_PT2_S3_iPiS3_S6_21rocsparse_index_base_imNS_24const_host_device_scalarIfEENS8_IdEENS8_IS4_EEb.uses_flat_scratch, 0
	.set _ZN9rocsparseL12bsrilu0_9_32ILj64ELj64ELj16EdEEv20rocsparse_direction_iPKiS3_PT2_S3_iPiS3_S6_21rocsparse_index_base_imNS_24const_host_device_scalarIfEENS8_IdEENS8_IS4_EEb.has_dyn_sized_stack, 0
	.set _ZN9rocsparseL12bsrilu0_9_32ILj64ELj64ELj16EdEEv20rocsparse_direction_iPKiS3_PT2_S3_iPiS3_S6_21rocsparse_index_base_imNS_24const_host_device_scalarIfEENS8_IdEENS8_IS4_EEb.has_recursion, 0
	.set _ZN9rocsparseL12bsrilu0_9_32ILj64ELj64ELj16EdEEv20rocsparse_direction_iPKiS3_PT2_S3_iPiS3_S6_21rocsparse_index_base_imNS_24const_host_device_scalarIfEENS8_IdEENS8_IS4_EEb.has_indirect_call, 0
	.section	.AMDGPU.csdata,"",@progbits
; Kernel info:
; codeLenInByte = 6188
; TotalNumSgprs: 48
; NumVgprs: 37
; ScratchSize: 0
; MemoryBound: 0
; FloatMode: 240
; IeeeMode: 1
; LDSByteSize: 4352 bytes/workgroup (compile time only)
; SGPRBlocks: 0
; VGPRBlocks: 4
; NumSGPRsForWavesPerEU: 48
; NumVGPRsForWavesPerEU: 37
; Occupancy: 15
; WaveLimiterHint : 1
; COMPUTE_PGM_RSRC2:SCRATCH_EN: 0
; COMPUTE_PGM_RSRC2:USER_SGPR: 6
; COMPUTE_PGM_RSRC2:TRAP_HANDLER: 0
; COMPUTE_PGM_RSRC2:TGID_X_EN: 1
; COMPUTE_PGM_RSRC2:TGID_Y_EN: 0
; COMPUTE_PGM_RSRC2:TGID_Z_EN: 0
; COMPUTE_PGM_RSRC2:TIDIG_COMP_CNT: 1
	.section	.text._ZN9rocsparseL12bsrilu0_9_32ILj64ELj64ELj32EdEEv20rocsparse_direction_iPKiS3_PT2_S3_iPiS3_S6_21rocsparse_index_base_imNS_24const_host_device_scalarIfEENS8_IdEENS8_IS4_EEb,"axG",@progbits,_ZN9rocsparseL12bsrilu0_9_32ILj64ELj64ELj32EdEEv20rocsparse_direction_iPKiS3_PT2_S3_iPiS3_S6_21rocsparse_index_base_imNS_24const_host_device_scalarIfEENS8_IdEENS8_IS4_EEb,comdat
	.globl	_ZN9rocsparseL12bsrilu0_9_32ILj64ELj64ELj32EdEEv20rocsparse_direction_iPKiS3_PT2_S3_iPiS3_S6_21rocsparse_index_base_imNS_24const_host_device_scalarIfEENS8_IdEENS8_IS4_EEb ; -- Begin function _ZN9rocsparseL12bsrilu0_9_32ILj64ELj64ELj32EdEEv20rocsparse_direction_iPKiS3_PT2_S3_iPiS3_S6_21rocsparse_index_base_imNS_24const_host_device_scalarIfEENS8_IdEENS8_IS4_EEb
	.p2align	8
	.type	_ZN9rocsparseL12bsrilu0_9_32ILj64ELj64ELj32EdEEv20rocsparse_direction_iPKiS3_PT2_S3_iPiS3_S6_21rocsparse_index_base_imNS_24const_host_device_scalarIfEENS8_IdEENS8_IS4_EEb,@function
_ZN9rocsparseL12bsrilu0_9_32ILj64ELj64ELj32EdEEv20rocsparse_direction_iPKiS3_PT2_S3_iPiS3_S6_21rocsparse_index_base_imNS_24const_host_device_scalarIfEENS8_IdEENS8_IS4_EEb: ; @_ZN9rocsparseL12bsrilu0_9_32ILj64ELj64ELj32EdEEv20rocsparse_direction_iPKiS3_PT2_S3_iPiS3_S6_21rocsparse_index_base_imNS_24const_host_device_scalarIfEENS8_IdEENS8_IS4_EEb
; %bb.0:
	s_clause 0x2
	s_load_dword s0, s[4:5], 0x70
	s_load_dwordx2 s[24:25], s[4:5], 0x48
	s_load_dwordx8 s[16:23], s[4:5], 0x50
	s_waitcnt lgkmcnt(0)
	s_bitcmp1_b32 s0, 0
	s_cselect_b32 s0, -1, 0
	s_cmp_eq_u32 s25, 0
	s_cselect_b32 s2, -1, 0
	s_cmp_lg_u32 s25, 0
	s_cselect_b32 s36, -1, 0
	s_or_b32 s7, s2, s0
	s_xor_b32 s3, s7, -1
	s_and_b32 s0, s2, exec_lo
	s_cselect_b32 s1, 0, s21
	s_cselect_b32 s0, 0, s20
	s_and_b32 vcc_lo, exec_lo, s7
	s_cbranch_vccnz .LBB11_2
; %bb.1:
	s_load_dword s0, s[18:19], 0x0
	s_waitcnt lgkmcnt(0)
	v_mov_b32_e32 v14, s0
	s_mov_b64 s[0:1], s[20:21]
	s_branch .LBB11_3
.LBB11_2:
	v_cndmask_b32_e64 v14, s18, 0, s2
.LBB11_3:
	v_mov_b32_e32 v5, s1
	v_cndmask_b32_e64 v2, 0, 1, s3
	v_mov_b32_e32 v4, s0
	s_andn2_b32 vcc_lo, exec_lo, s3
	s_cbranch_vccnz .LBB11_5
; %bb.4:
	v_mov_b32_e32 v3, s20
	v_mov_b32_e32 v4, s21
	flat_load_dwordx2 v[4:5], v[3:4]
.LBB11_5:
	s_and_b32 s0, s2, exec_lo
	s_cselect_b32 s1, 0, s23
	v_cmp_ne_u32_e32 vcc_lo, 1, v2
	s_cselect_b32 s0, 0, s22
	v_mov_b32_e32 v3, s1
	v_mov_b32_e32 v2, s0
	s_mov_b32 s7, 0
	s_cbranch_vccnz .LBB11_7
; %bb.6:
	v_mov_b32_e32 v2, s22
	v_mov_b32_e32 v3, s23
	flat_load_dwordx2 v[2:3], v[2:3]
.LBB11_7:
	s_clause 0x1
	s_load_dwordx4 s[20:23], s[4:5], 0x30
	s_load_dwordx2 s[18:19], s[4:5], 0x40
	s_lshl_b64 s[0:1], s[6:7], 2
	s_waitcnt lgkmcnt(0)
	s_add_u32 s0, s22, s0
	s_addc_u32 s1, s23, s1
	s_load_dword s22, s[0:1], 0x0
	s_load_dwordx8 s[8:15], s[4:5], 0x8
	s_waitcnt lgkmcnt(0)
	s_ashr_i32 s23, s22, 31
	s_lshl_b64 s[26:27], s[22:23], 2
	s_add_u32 s0, s14, s26
	s_addc_u32 s1, s15, s27
	s_load_dword s28, s[0:1], 0x0
	s_waitcnt lgkmcnt(0)
	s_cmp_eq_u32 s28, -1
	s_cbranch_scc1 .LBB11_104
; %bb.8:
	s_add_u32 s0, s8, s26
	s_addc_u32 s1, s9, s27
	s_mov_b32 s23, 0
	s_load_dwordx2 s[0:1], s[0:1], 0x0
	s_clause 0x1
	s_load_dwordx2 s[30:31], s[4:5], 0x0
	s_load_dword s25, s[4:5], 0x28
	s_waitcnt lgkmcnt(0)
	s_sub_i32 s34, s0, s24
	s_sub_i32 s33, s1, s24
	s_cmp_ge_i32 s34, s28
	s_cbranch_scc1 .LBB11_93
; %bb.9:
	v_lshlrev_b32_e32 v6, 5, v1
	v_mad_u64_u32 v[9:10], null, s25, s34, v[0:1]
	v_lshlrev_b32_e32 v11, 3, v0
	s_cmp_lg_u32 s30, 0
	v_add3_u32 v6, v6, v0, s34
	v_cmp_gt_i32_e64 s0, s25, v0
	v_cmp_le_i32_e64 s1, s25, v0
	v_mad_u32_u24 v16, 0x108, v1, v11
	v_mul_lo_u32 v17, s25, v9
	v_ashrrev_i32_e32 v7, 31, v6
	v_cmp_gt_i32_e64 s2, s25, v1
	v_cmp_eq_u32_e64 s3, 0, v1
	v_add_nc_u32_e32 v15, 1, v1
	v_cmp_gt_i32_e64 s4, s33, v6
	v_lshlrev_b64 v[7:8], 2, v[6:7]
	v_mul_u32_u24_e32 v18, 0x108, v1
	v_add_nc_u32_e32 v19, 0x2100, v16
	v_add_nc_u32_e32 v20, 0x2208, v16
	v_mad_u32_u24 v21, 0x108, v1, 0x108
	v_add_nc_u32_e32 v22, 0x2100, v11
	v_add_co_u32 v7, vcc_lo, s10, v7
	v_add_co_ci_u32_e64 v8, null, s11, v8, vcc_lo
	v_mov_b32_e32 v23, 0
	s_cselect_b32 s29, -1, 0
	s_cmp_gt_i32 s25, 0
	s_mul_i32 s38, s25, s25
	s_cselect_b32 s37, -1, 0
	s_add_i32 s31, s31, 1
	s_lshl_b32 s39, s25, 5
	s_branch .LBB11_12
.LBB11_10:                              ;   in Loop: Header=BB11_12 Depth=1
	s_mov_b32 s23, -1
.LBB11_11:                              ;   in Loop: Header=BB11_12 Depth=1
	s_add_i32 s34, s34, 1
	v_add_nc_u32_e32 v17, s38, v17
	s_cmp_lt_i32 s34, s28
	s_cselect_b32 s6, -1, 0
	s_and_b32 s5, s5, s6
	s_and_b32 vcc_lo, exec_lo, s5
	s_cbranch_vccz .LBB11_93
.LBB11_12:                              ; =>This Loop Header: Depth=1
                                        ;     Child Loop BB11_15 Depth 2
                                        ;       Child Loop BB11_18 Depth 3
                                        ;     Child Loop BB11_24 Depth 2
                                        ;     Child Loop BB11_28 Depth 2
                                        ;       Child Loop BB11_31 Depth 3
                                        ;     Child Loop BB11_38 Depth 2
                                        ;       Child Loop BB11_41 Depth 3
                                        ;         Child Loop BB11_45 Depth 4
                                        ;     Child Loop BB11_49 Depth 2
                                        ;       Child Loop BB11_52 Depth 3
                                        ;     Child Loop BB11_61 Depth 2
                                        ;       Child Loop BB11_66 Depth 3
                                        ;       Child Loop BB11_75 Depth 3
                                        ;         Child Loop BB11_78 Depth 4
                                        ;       Child Loop BB11_84 Depth 3
                                        ;         Child Loop BB11_87 Depth 4
                                        ;           Child Loop BB11_88 Depth 5
	s_ashr_i32 s35, s34, 31
	s_lshl_b64 s[6:7], s[34:35], 2
	s_add_u32 s6, s10, s6
	s_addc_u32 s7, s11, s7
	global_load_dword v9, v23, s[6:7]
	s_waitcnt vmcnt(0)
	v_readfirstlane_b32 s5, v9
	s_and_saveexec_b32 s6, s0
	s_cbranch_execz .LBB11_22
; %bb.13:                               ;   in Loop: Header=BB11_12 Depth=1
	v_mov_b32_e32 v12, v19
	v_mov_b32_e32 v13, v17
	;; [unrolled: 1-line block ×3, first 2 shown]
	s_mul_i32 s7, s34, s25
	s_mov_b32 s35, 0
	s_inst_prefetch 0x1
	s_branch .LBB11_15
	.p2align	6
.LBB11_14:                              ;   in Loop: Header=BB11_15 Depth=2
	s_or_b32 exec_lo, exec_lo, s40
	v_add_nc_u32_e32 v9, 32, v9
	v_add_nc_u32_e32 v13, s39, v13
	;; [unrolled: 1-line block ×3, first 2 shown]
	v_cmp_le_i32_e32 vcc_lo, s25, v9
	s_or_b32 s35, vcc_lo, s35
	s_andn2_b32 exec_lo, exec_lo, s35
	s_cbranch_execz .LBB11_22
.LBB11_15:                              ;   Parent Loop BB11_12 Depth=1
                                        ; =>  This Loop Header: Depth=2
                                        ;       Child Loop BB11_18 Depth 3
	s_and_saveexec_b32 s40, s2
	s_cbranch_execz .LBB11_14
; %bb.16:                               ;   in Loop: Header=BB11_15 Depth=2
	v_mov_b32_e32 v24, v12
	v_mov_b32_e32 v25, v1
	s_mov_b32 s41, 0
	s_branch .LBB11_18
	.p2align	6
.LBB11_17:                              ;   in Loop: Header=BB11_18 Depth=3
	v_ashrrev_i32_e32 v11, 31, v10
	v_add_nc_u32_e32 v25, 2, v25
	v_lshlrev_b64 v[10:11], 3, v[10:11]
	v_add_co_u32 v10, vcc_lo, s12, v10
	v_add_co_ci_u32_e64 v11, null, s13, v11, vcc_lo
	v_cmp_le_i32_e32 vcc_lo, s25, v25
	global_load_dwordx2 v[10:11], v[10:11], off
	s_or_b32 s41, vcc_lo, s41
	s_waitcnt vmcnt(0)
	ds_write_b64 v24, v[10:11]
	v_add_nc_u32_e32 v24, 0x210, v24
	s_andn2_b32 exec_lo, exec_lo, s41
	s_cbranch_execz .LBB11_14
.LBB11_18:                              ;   Parent Loop BB11_12 Depth=1
                                        ;     Parent Loop BB11_15 Depth=2
                                        ; =>    This Inner Loop Header: Depth=3
	s_and_b32 vcc_lo, exec_lo, s29
	s_cbranch_vccz .LBB11_20
; %bb.19:                               ;   in Loop: Header=BB11_18 Depth=3
	v_add_nc_u32_e32 v10, s7, v25
	v_mad_u64_u32 v[10:11], null, v10, s25, v[9:10]
	s_cbranch_execnz .LBB11_17
	s_branch .LBB11_21
	.p2align	6
.LBB11_20:                              ;   in Loop: Header=BB11_18 Depth=3
                                        ; implicit-def: $vgpr10
.LBB11_21:                              ;   in Loop: Header=BB11_18 Depth=3
	v_add_nc_u32_e32 v10, v13, v25
	s_branch .LBB11_17
.LBB11_22:                              ;   in Loop: Header=BB11_12 Depth=1
	s_inst_prefetch 0x2
	s_or_b32 exec_lo, exec_lo, s6
	s_sub_i32 s6, s5, s24
	s_ashr_i32 s7, s6, 31
	s_lshl_b64 s[6:7], s[6:7], 2
	s_add_u32 s40, s14, s6
	s_addc_u32 s41, s15, s7
	global_load_dword v9, v23, s[40:41]
	s_waitcnt vmcnt(0)
	v_cmp_eq_u32_e32 vcc_lo, -1, v9
	v_readfirstlane_b32 s35, v9
	v_cmp_ne_u32_e64 s5, -1, v9
	s_cbranch_vccnz .LBB11_10
; %bb.23:                               ;   in Loop: Header=BB11_12 Depth=1
	s_add_u32 s40, s8, s6
	s_addc_u32 s41, s9, s7
	s_add_u32 s6, s20, s6
	global_load_dword v9, v23, s[40:41] offset:4
	s_addc_u32 s7, s21, s7
	s_waitcnt vmcnt(0)
	v_readfirstlane_b32 s40, v9
.LBB11_24:                              ;   Parent Loop BB11_12 Depth=1
                                        ; =>  This Inner Loop Header: Depth=2
	global_load_dword v9, v23, s[6:7] glc dlc
	s_waitcnt vmcnt(0)
	v_cmp_eq_u32_e32 vcc_lo, 0, v9
	s_cbranch_vccnz .LBB11_24
; %bb.25:                               ;   in Loop: Header=BB11_12 Depth=1
	s_waitcnt lgkmcnt(0)
	buffer_gl1_inv
	buffer_gl0_inv
	s_and_saveexec_b32 s6, s0
	s_cbranch_execz .LBB11_35
; %bb.26:                               ;   in Loop: Header=BB11_12 Depth=1
	s_mul_i32 s7, s35, s25
	v_mov_b32_e32 v13, v16
	v_add_nc_u32_e32 v9, s7, v0
	s_mov_b32 s41, 0
	v_mul_lo_u32 v12, s25, v9
	v_mov_b32_e32 v9, v0
	s_inst_prefetch 0x1
	s_branch .LBB11_28
	.p2align	6
.LBB11_27:                              ;   in Loop: Header=BB11_28 Depth=2
	s_or_b32 exec_lo, exec_lo, s42
	v_add_nc_u32_e32 v9, 32, v9
	v_add_nc_u32_e32 v12, s39, v12
	;; [unrolled: 1-line block ×3, first 2 shown]
	v_cmp_le_i32_e32 vcc_lo, s25, v9
	s_or_b32 s41, vcc_lo, s41
	s_andn2_b32 exec_lo, exec_lo, s41
	s_cbranch_execz .LBB11_35
.LBB11_28:                              ;   Parent Loop BB11_12 Depth=1
                                        ; =>  This Loop Header: Depth=2
                                        ;       Child Loop BB11_31 Depth 3
	s_and_saveexec_b32 s42, s2
	s_cbranch_execz .LBB11_27
; %bb.29:                               ;   in Loop: Header=BB11_28 Depth=2
	v_mov_b32_e32 v24, v13
	v_mov_b32_e32 v25, v1
	s_mov_b32 s43, 0
	s_branch .LBB11_31
	.p2align	6
.LBB11_30:                              ;   in Loop: Header=BB11_31 Depth=3
	v_ashrrev_i32_e32 v11, 31, v10
	v_add_nc_u32_e32 v25, 2, v25
	v_lshlrev_b64 v[10:11], 3, v[10:11]
	v_add_co_u32 v10, vcc_lo, s12, v10
	v_add_co_ci_u32_e64 v11, null, s13, v11, vcc_lo
	v_cmp_le_i32_e32 vcc_lo, s25, v25
	global_load_dwordx2 v[10:11], v[10:11], off
	s_or_b32 s43, vcc_lo, s43
	s_waitcnt vmcnt(0)
	ds_write_b64 v24, v[10:11]
	v_add_nc_u32_e32 v24, 0x210, v24
	s_andn2_b32 exec_lo, exec_lo, s43
	s_cbranch_execz .LBB11_27
.LBB11_31:                              ;   Parent Loop BB11_12 Depth=1
                                        ;     Parent Loop BB11_28 Depth=2
                                        ; =>    This Inner Loop Header: Depth=3
	s_and_b32 vcc_lo, exec_lo, s29
	s_cbranch_vccz .LBB11_33
; %bb.32:                               ;   in Loop: Header=BB11_31 Depth=3
	v_add_nc_u32_e32 v10, s7, v25
	v_mad_u64_u32 v[10:11], null, v10, s25, v[9:10]
	s_cbranch_execnz .LBB11_30
	s_branch .LBB11_34
	.p2align	6
.LBB11_33:                              ;   in Loop: Header=BB11_31 Depth=3
                                        ; implicit-def: $vgpr10
.LBB11_34:                              ;   in Loop: Header=BB11_31 Depth=3
	v_add_nc_u32_e32 v10, v12, v25
	s_branch .LBB11_30
.LBB11_35:                              ;   in Loop: Header=BB11_12 Depth=1
	s_inst_prefetch 0x2
	s_or_b32 exec_lo, exec_lo, s6
	s_andn2_b32 vcc_lo, exec_lo, s37
	s_waitcnt lgkmcnt(0)
	buffer_gl0_inv
	s_cbranch_vccnz .LBB11_46
; %bb.36:                               ;   in Loop: Header=BB11_12 Depth=1
	v_mov_b32_e32 v13, v21
	v_mov_b32_e32 v24, v20
	s_mov_b32 s7, 0
	s_branch .LBB11_38
.LBB11_37:                              ;   in Loop: Header=BB11_38 Depth=2
	s_or_b32 exec_lo, exec_lo, s41
	v_add_nc_u32_e32 v24, 0x108, v24
	v_add_nc_u32_e32 v13, 0x110, v13
	s_add_i32 s7, s7, 1
	s_waitcnt lgkmcnt(0)
	buffer_gl0_inv
	s_cmp_eq_u32 s7, s25
	s_cbranch_scc1 .LBB11_46
.LBB11_38:                              ;   Parent Loop BB11_12 Depth=1
                                        ; =>  This Loop Header: Depth=2
                                        ;       Child Loop BB11_41 Depth 3
                                        ;         Child Loop BB11_45 Depth 4
	s_and_saveexec_b32 s41, s0
	s_cbranch_execz .LBB11_37
; %bb.39:                               ;   in Loop: Header=BB11_38 Depth=2
	s_mul_i32 s42, s7, 0x108
	s_lshl_b32 s6, s7, 3
	v_add_nc_u32_e32 v25, s7, v15
	s_add_i32 s6, s42, s6
	v_mov_b32_e32 v26, v24
	v_mov_b32_e32 v9, s6
	;; [unrolled: 1-line block ×3, first 2 shown]
	v_cmp_gt_i32_e64 s6, s25, v25
	s_addk_i32 s42, 0x2100
	s_mov_b32 s43, 0
	ds_read_b64 v[9:10], v9
	s_branch .LBB11_41
.LBB11_40:                              ;   in Loop: Header=BB11_41 Depth=3
	s_or_b32 exec_lo, exec_lo, s44
	v_add_nc_u32_e32 v27, 32, v27
	v_add_nc_u32_e32 v26, 0x100, v26
	v_cmp_le_i32_e32 vcc_lo, s25, v27
	s_or_b32 s43, vcc_lo, s43
	s_andn2_b32 exec_lo, exec_lo, s43
	s_cbranch_execz .LBB11_37
.LBB11_41:                              ;   Parent Loop BB11_12 Depth=1
                                        ;     Parent Loop BB11_38 Depth=2
                                        ; =>    This Loop Header: Depth=3
                                        ;         Child Loop BB11_45 Depth 4
	v_lshl_add_u32 v28, v27, 3, s42
	ds_read_b64 v[11:12], v28
	s_waitcnt lgkmcnt(0)
	buffer_gl0_inv
	v_div_scale_f64 v[29:30], null, v[9:10], v[9:10], v[11:12]
	v_rcp_f64_e32 v[31:32], v[29:30]
	v_fma_f64 v[33:34], -v[29:30], v[31:32], 1.0
	v_fma_f64 v[31:32], v[31:32], v[33:34], v[31:32]
	v_fma_f64 v[33:34], -v[29:30], v[31:32], 1.0
	v_fma_f64 v[31:32], v[31:32], v[33:34], v[31:32]
	v_div_scale_f64 v[33:34], vcc_lo, v[11:12], v[9:10], v[11:12]
	v_mul_f64 v[35:36], v[33:34], v[31:32]
	v_fma_f64 v[29:30], -v[29:30], v[35:36], v[33:34]
	v_div_fmas_f64 v[29:30], v[29:30], v[31:32], v[35:36]
	v_div_fixup_f64 v[11:12], v[29:30], v[9:10], v[11:12]
	s_and_saveexec_b32 s44, s3
; %bb.42:                               ;   in Loop: Header=BB11_41 Depth=3
	ds_write_b64 v28, v[11:12]
; %bb.43:                               ;   in Loop: Header=BB11_41 Depth=3
	s_or_b32 exec_lo, exec_lo, s44
	s_and_saveexec_b32 s44, s6
	s_cbranch_execz .LBB11_40
; %bb.44:                               ;   in Loop: Header=BB11_41 Depth=3
	v_mov_b32_e32 v28, v13
	v_mov_b32_e32 v29, v26
	v_mov_b32_e32 v30, v25
	s_mov_b32 s45, 0
	.p2align	6
.LBB11_45:                              ;   Parent Loop BB11_12 Depth=1
                                        ;     Parent Loop BB11_38 Depth=2
                                        ;       Parent Loop BB11_41 Depth=3
                                        ; =>      This Inner Loop Header: Depth=4
	ds_read_b64 v[31:32], v28
	ds_read_b64 v[33:34], v29
	v_add_nc_u32_e32 v30, 2, v30
	v_add_nc_u32_e32 v28, 0x210, v28
	v_cmp_le_i32_e32 vcc_lo, s25, v30
	s_or_b32 s45, vcc_lo, s45
	s_waitcnt lgkmcnt(0)
	v_fma_f64 v[31:32], -v[11:12], v[31:32], v[33:34]
	ds_write_b64 v29, v[31:32]
	v_add_nc_u32_e32 v29, 0x210, v29
	s_andn2_b32 exec_lo, exec_lo, s45
	s_cbranch_execnz .LBB11_45
	s_branch .LBB11_40
.LBB11_46:                              ;   in Loop: Header=BB11_12 Depth=1
	s_and_saveexec_b32 s7, s0
	s_cbranch_execz .LBB11_56
; %bb.47:                               ;   in Loop: Header=BB11_12 Depth=1
	v_mov_b32_e32 v24, v19
	v_mov_b32_e32 v25, v17
	;; [unrolled: 1-line block ×3, first 2 shown]
	s_mul_i32 s41, s34, s25
	s_mov_b32 s42, 0
	s_inst_prefetch 0x1
	s_branch .LBB11_49
	.p2align	6
.LBB11_48:                              ;   in Loop: Header=BB11_49 Depth=2
	s_or_b32 exec_lo, exec_lo, s43
	v_add_nc_u32_e32 v9, 32, v9
	v_add_nc_u32_e32 v25, s39, v25
	;; [unrolled: 1-line block ×3, first 2 shown]
	v_cmp_le_i32_e32 vcc_lo, s25, v9
	s_or_b32 s42, vcc_lo, s42
	s_andn2_b32 exec_lo, exec_lo, s42
	s_cbranch_execz .LBB11_56
.LBB11_49:                              ;   Parent Loop BB11_12 Depth=1
                                        ; =>  This Loop Header: Depth=2
                                        ;       Child Loop BB11_52 Depth 3
	s_and_saveexec_b32 s43, s2
	s_cbranch_execz .LBB11_48
; %bb.50:                               ;   in Loop: Header=BB11_49 Depth=2
	v_mov_b32_e32 v26, v24
	v_mov_b32_e32 v27, v1
	s_mov_b32 s44, 0
	s_branch .LBB11_52
	.p2align	6
.LBB11_51:                              ;   in Loop: Header=BB11_52 Depth=3
	v_ashrrev_i32_e32 v13, 31, v12
	v_add_nc_u32_e32 v27, 2, v27
	v_add_nc_u32_e32 v26, 0x210, v26
	v_lshlrev_b64 v[12:13], 3, v[12:13]
	v_cmp_le_i32_e32 vcc_lo, s25, v27
	s_or_b32 s44, vcc_lo, s44
	v_add_co_u32 v12, s6, s12, v12
	v_add_co_ci_u32_e64 v13, null, s13, v13, s6
	s_waitcnt lgkmcnt(0)
	global_store_dwordx2 v[12:13], v[10:11], off
	s_andn2_b32 exec_lo, exec_lo, s44
	s_cbranch_execz .LBB11_48
.LBB11_52:                              ;   Parent Loop BB11_12 Depth=1
                                        ;     Parent Loop BB11_49 Depth=2
                                        ; =>    This Inner Loop Header: Depth=3
	ds_read_b64 v[10:11], v26
	s_and_b32 vcc_lo, exec_lo, s29
	s_cbranch_vccz .LBB11_54
; %bb.53:                               ;   in Loop: Header=BB11_52 Depth=3
	v_add_nc_u32_e32 v12, s41, v27
	s_waitcnt lgkmcnt(0)
	v_mad_u64_u32 v[12:13], null, v12, s25, v[9:10]
	s_cbranch_execnz .LBB11_51
	s_branch .LBB11_55
	.p2align	6
.LBB11_54:                              ;   in Loop: Header=BB11_52 Depth=3
                                        ; implicit-def: $vgpr12
.LBB11_55:                              ;   in Loop: Header=BB11_52 Depth=3
	v_add_nc_u32_e32 v12, v25, v27
	s_branch .LBB11_51
.LBB11_56:                              ;   in Loop: Header=BB11_12 Depth=1
	s_inst_prefetch 0x2
	s_or_b32 exec_lo, exec_lo, s7
	s_sub_i32 s40, s40, s24
	s_add_i32 s6, s35, 1
	s_cmp_ge_i32 s6, s40
	s_cbranch_scc1 .LBB11_11
; %bb.57:                               ;   in Loop: Header=BB11_12 Depth=1
	v_mad_u64_u32 v[9:10], null, s25, s6, v[0:1]
	v_mul_lo_u32 v24, s25, v9
	s_branch .LBB11_61
.LBB11_58:                              ;   in Loop: Header=BB11_61 Depth=2
	s_or_b32 exec_lo, exec_lo, s35
.LBB11_59:                              ;   in Loop: Header=BB11_61 Depth=2
	s_or_b32 exec_lo, exec_lo, s7
.LBB11_60:                              ;   in Loop: Header=BB11_61 Depth=2
	v_add_nc_u32_e32 v24, s38, v24
	s_add_i32 s6, s6, 1
	s_waitcnt lgkmcnt(0)
	s_waitcnt_vscnt null, 0x0
	buffer_gl0_inv
	s_cmp_lt_i32 s6, s40
	s_cbranch_scc0 .LBB11_11
.LBB11_61:                              ;   Parent Loop BB11_12 Depth=1
                                        ; =>  This Loop Header: Depth=2
                                        ;       Child Loop BB11_66 Depth 3
                                        ;       Child Loop BB11_75 Depth 3
                                        ;         Child Loop BB11_78 Depth 4
                                        ;       Child Loop BB11_84 Depth 3
                                        ;         Child Loop BB11_87 Depth 4
                                        ;           Child Loop BB11_88 Depth 5
	s_ashr_i32 s7, s6, 31
	v_mov_b32_e32 v10, s31
	s_lshl_b64 s[42:43], s[6:7], 2
	s_add_u32 s42, s10, s42
	s_addc_u32 s43, s11, s43
	global_load_dword v9, v23, s[42:43]
	s_and_saveexec_b32 s7, s4
	s_cbranch_execz .LBB11_63
; %bb.62:                               ;   in Loop: Header=BB11_61 Depth=2
	global_load_dword v10, v[7:8], off
	s_waitcnt vmcnt(0)
	v_subrev_nc_u32_e32 v10, s24, v10
.LBB11_63:                              ;   in Loop: Header=BB11_61 Depth=2
	s_or_b32 exec_lo, exec_lo, s7
	s_waitcnt vmcnt(0)
	v_subrev_nc_u32_e32 v11, s24, v9
	v_mov_b32_e32 v12, v6
	s_mov_b32 s7, exec_lo
	v_cmpx_lt_i32_e64 v10, v11
	s_cbranch_execz .LBB11_69
; %bb.64:                               ;   in Loop: Header=BB11_61 Depth=2
	v_mov_b32_e32 v9, v6
	s_mov_b32 s35, 0
	s_branch .LBB11_66
	.p2align	6
.LBB11_65:                              ;   in Loop: Header=BB11_66 Depth=3
	s_or_b32 exec_lo, exec_lo, s41
	v_cmp_ge_i32_e32 vcc_lo, v10, v11
	v_mov_b32_e32 v9, v12
	s_or_b32 s35, vcc_lo, s35
	s_andn2_b32 exec_lo, exec_lo, s35
	s_cbranch_execz .LBB11_68
.LBB11_66:                              ;   Parent Loop BB11_12 Depth=1
                                        ;     Parent Loop BB11_61 Depth=2
                                        ; =>    This Inner Loop Header: Depth=3
	v_add_nc_u32_e32 v12, 64, v9
	v_mov_b32_e32 v10, s31
	s_mov_b32 s41, exec_lo
	v_cmpx_gt_i32_e64 s33, v12
	s_cbranch_execz .LBB11_65
; %bb.67:                               ;   in Loop: Header=BB11_66 Depth=3
	v_ashrrev_i32_e32 v10, 31, v9
	v_lshlrev_b64 v[9:10], 2, v[9:10]
	v_add_co_u32 v9, vcc_lo, s10, v9
	v_add_co_ci_u32_e64 v10, null, s11, v10, vcc_lo
	global_load_dword v9, v[9:10], off offset:256
	s_waitcnt vmcnt(0)
	v_subrev_nc_u32_e32 v10, s24, v9
	s_branch .LBB11_65
.LBB11_68:                              ;   in Loop: Header=BB11_61 Depth=2
	s_or_b32 exec_lo, exec_lo, s35
.LBB11_69:                              ;   in Loop: Header=BB11_61 Depth=2
	s_or_b32 exec_lo, exec_lo, s7
	v_cmp_eq_u32_e32 vcc_lo, v10, v11
	s_cbranch_vccz .LBB11_60
; %bb.70:                               ;   in Loop: Header=BB11_61 Depth=2
	s_ff1_i32_b32 s7, vcc_lo
	s_lshl_b32 s7, s7, 2
	v_mov_b32_e32 v9, s7
	ds_bpermute_b32 v12, v9, v12
	s_and_saveexec_b32 s7, s1
	s_xor_b32 s7, exec_lo, s7
	s_cbranch_execz .LBB11_72
; %bb.71:                               ;   in Loop: Header=BB11_61 Depth=2
	s_waitcnt lgkmcnt(0)
	s_waitcnt_vscnt null, 0x0
	buffer_gl0_inv
                                        ; implicit-def: $vgpr12
.LBB11_72:                              ;   in Loop: Header=BB11_61 Depth=2
	s_andn2_saveexec_b32 s7, s7
	s_cbranch_execz .LBB11_59
; %bb.73:                               ;   in Loop: Header=BB11_61 Depth=2
	v_mov_b32_e32 v13, v16
	v_mov_b32_e32 v25, v24
	;; [unrolled: 1-line block ×3, first 2 shown]
	s_mul_i32 s41, s6, s25
	s_mov_b32 s35, 0
	s_inst_prefetch 0x1
	s_branch .LBB11_75
	.p2align	6
.LBB11_74:                              ;   in Loop: Header=BB11_75 Depth=3
	s_or_b32 exec_lo, exec_lo, s42
	v_add_nc_u32_e32 v9, 32, v9
	v_add_nc_u32_e32 v25, s39, v25
	;; [unrolled: 1-line block ×3, first 2 shown]
	v_cmp_le_i32_e32 vcc_lo, s25, v9
	s_or_b32 s35, vcc_lo, s35
	s_andn2_b32 exec_lo, exec_lo, s35
	s_cbranch_execz .LBB11_82
.LBB11_75:                              ;   Parent Loop BB11_12 Depth=1
                                        ;     Parent Loop BB11_61 Depth=2
                                        ; =>    This Loop Header: Depth=3
                                        ;         Child Loop BB11_78 Depth 4
	s_and_saveexec_b32 s42, s2
	s_cbranch_execz .LBB11_74
; %bb.76:                               ;   in Loop: Header=BB11_75 Depth=3
	v_mov_b32_e32 v26, v13
	v_mov_b32_e32 v27, v1
	s_mov_b32 s43, 0
	s_branch .LBB11_78
	.p2align	6
.LBB11_77:                              ;   in Loop: Header=BB11_78 Depth=4
	v_ashrrev_i32_e32 v11, 31, v10
	v_add_nc_u32_e32 v27, 2, v27
	v_lshlrev_b64 v[10:11], 3, v[10:11]
	v_add_co_u32 v10, vcc_lo, s12, v10
	v_add_co_ci_u32_e64 v11, null, s13, v11, vcc_lo
	v_cmp_le_i32_e32 vcc_lo, s25, v27
	global_load_dwordx2 v[10:11], v[10:11], off
	s_or_b32 s43, vcc_lo, s43
	s_waitcnt vmcnt(0)
	ds_write_b64 v26, v[10:11]
	v_add_nc_u32_e32 v26, 0x210, v26
	s_andn2_b32 exec_lo, exec_lo, s43
	s_cbranch_execz .LBB11_74
.LBB11_78:                              ;   Parent Loop BB11_12 Depth=1
                                        ;     Parent Loop BB11_61 Depth=2
                                        ;       Parent Loop BB11_75 Depth=3
                                        ; =>      This Inner Loop Header: Depth=4
	s_and_b32 vcc_lo, exec_lo, s29
	s_cbranch_vccz .LBB11_80
; %bb.79:                               ;   in Loop: Header=BB11_78 Depth=4
	v_add_nc_u32_e32 v10, s41, v27
	v_mad_u64_u32 v[10:11], null, v10, s25, v[9:10]
	s_cbranch_execnz .LBB11_77
	s_branch .LBB11_81
	.p2align	6
.LBB11_80:                              ;   in Loop: Header=BB11_78 Depth=4
                                        ; implicit-def: $vgpr10
.LBB11_81:                              ;   in Loop: Header=BB11_78 Depth=4
	v_add_nc_u32_e32 v10, v25, v27
	s_branch .LBB11_77
.LBB11_82:                              ;   in Loop: Header=BB11_61 Depth=2
	s_inst_prefetch 0x2
	s_or_b32 exec_lo, exec_lo, s35
	s_waitcnt lgkmcnt(0)
	v_mul_lo_u32 v25, v12, s25
	v_mov_b32_e32 v26, v22
	v_mov_b32_e32 v9, v0
	s_mov_b32 s35, 0
	s_waitcnt_vscnt null, 0x0
	buffer_gl0_inv
	s_branch .LBB11_84
.LBB11_83:                              ;   in Loop: Header=BB11_84 Depth=3
	s_or_b32 exec_lo, exec_lo, s41
	v_add_nc_u32_e32 v9, 32, v9
	v_add_nc_u32_e32 v26, 0x100, v26
	v_cmp_le_i32_e32 vcc_lo, s25, v9
	s_or_b32 s35, vcc_lo, s35
	s_andn2_b32 exec_lo, exec_lo, s35
	s_cbranch_execz .LBB11_58
.LBB11_84:                              ;   Parent Loop BB11_12 Depth=1
                                        ;     Parent Loop BB11_61 Depth=2
                                        ; =>    This Loop Header: Depth=3
                                        ;         Child Loop BB11_87 Depth 4
                                        ;           Child Loop BB11_88 Depth 5
	s_and_saveexec_b32 s41, s2
	s_cbranch_execz .LBB11_83
; %bb.85:                               ;   in Loop: Header=BB11_84 Depth=3
	v_add_nc_u32_e32 v10, v9, v25
	v_mov_b32_e32 v28, v18
	v_mov_b32_e32 v29, v1
	s_mov_b32 s42, 0
	v_mul_lo_u32 v27, v10, s25
	s_branch .LBB11_87
.LBB11_86:                              ;   in Loop: Header=BB11_87 Depth=4
	v_ashrrev_i32_e32 v13, 31, v12
	v_add_nc_u32_e32 v29, 2, v29
	v_add_nc_u32_e32 v28, 0x210, v28
	v_lshlrev_b64 v[12:13], 3, v[12:13]
	v_add_co_u32 v12, vcc_lo, s12, v12
	v_add_co_ci_u32_e64 v13, null, s13, v13, vcc_lo
	v_cmp_le_i32_e32 vcc_lo, s25, v29
	global_load_dwordx2 v[30:31], v[12:13], off
	s_or_b32 s42, vcc_lo, s42
	s_waitcnt vmcnt(0)
	v_add_f64 v[10:11], v[30:31], -v[10:11]
	global_store_dwordx2 v[12:13], v[10:11], off
	s_andn2_b32 exec_lo, exec_lo, s42
	s_cbranch_execz .LBB11_83
.LBB11_87:                              ;   Parent Loop BB11_12 Depth=1
                                        ;     Parent Loop BB11_61 Depth=2
                                        ;       Parent Loop BB11_84 Depth=3
                                        ; =>      This Loop Header: Depth=4
                                        ;           Child Loop BB11_88 Depth 5
	v_mov_b32_e32 v10, 0
	v_mov_b32_e32 v11, 0
	;; [unrolled: 1-line block ×4, first 2 shown]
	s_mov_b32 s43, s25
.LBB11_88:                              ;   Parent Loop BB11_12 Depth=1
                                        ;     Parent Loop BB11_61 Depth=2
                                        ;       Parent Loop BB11_84 Depth=3
                                        ;         Parent Loop BB11_87 Depth=4
                                        ; =>        This Inner Loop Header: Depth=5
	ds_read_b64 v[30:31], v12
	ds_read_b64 v[32:33], v13
	v_add_nc_u32_e32 v13, 8, v13
	v_add_nc_u32_e32 v12, 0x108, v12
	s_add_i32 s43, s43, -1
	s_cmp_eq_u32 s43, 0
	s_waitcnt lgkmcnt(0)
	v_fma_f64 v[10:11], v[30:31], v[32:33], v[10:11]
	s_cbranch_scc0 .LBB11_88
; %bb.89:                               ;   in Loop: Header=BB11_87 Depth=4
	s_and_b32 vcc_lo, exec_lo, s29
	s_cbranch_vccz .LBB11_91
; %bb.90:                               ;   in Loop: Header=BB11_87 Depth=4
	v_add_nc_u32_e32 v12, v29, v25
	v_mad_u64_u32 v[12:13], null, v12, s25, v[9:10]
	s_cbranch_execnz .LBB11_86
	s_branch .LBB11_92
.LBB11_91:                              ;   in Loop: Header=BB11_87 Depth=4
                                        ; implicit-def: $vgpr12
.LBB11_92:                              ;   in Loop: Header=BB11_87 Depth=4
	v_add_nc_u32_e32 v12, v29, v27
	s_branch .LBB11_86
.LBB11_93:
	s_ashr_i32 s29, s28, 31
	v_mov_b32_e32 v6, 0
	s_lshl_b64 s[0:1], s[28:29], 2
	s_add_u32 s0, s10, s0
	s_addc_u32 s1, s11, s1
	global_load_dword v6, v6, s[0:1]
	s_waitcnt vmcnt(0)
	v_subrev_nc_u32_e32 v6, s24, v6
	v_cmp_ne_u32_e32 vcc_lo, s22, v6
	s_cbranch_vccnz .LBB11_138
; %bb.94:
	v_cmp_gt_i32_e64 s0, s25, v0
	s_and_saveexec_b32 s2, s0
	s_cbranch_execz .LBB11_105
; %bb.95:
	s_mul_i32 s3, s28, s25
	v_lshlrev_b32_e32 v7, 3, v0
	v_add_nc_u32_e32 v6, s3, v0
	v_cmp_gt_u32_e64 s1, s25, v1
	s_cmp_lg_u32 s30, 0
	s_mov_b32 s4, 0
	v_mad_u32_u24 v10, 0x108, v1, v7
	v_mul_lo_u32 v9, s25, v6
	v_mov_b32_e32 v6, v0
	s_cselect_b32 s5, -1, 0
	s_lshl_b32 s6, s25, 5
	s_inst_prefetch 0x1
	s_branch .LBB11_97
	.p2align	6
.LBB11_96:                              ;   in Loop: Header=BB11_97 Depth=1
	s_or_b32 exec_lo, exec_lo, s7
	v_add_nc_u32_e32 v6, 32, v6
	v_add_nc_u32_e32 v9, s6, v9
	;; [unrolled: 1-line block ×3, first 2 shown]
	v_cmp_le_i32_e32 vcc_lo, s25, v6
	s_or_b32 s4, vcc_lo, s4
	s_andn2_b32 exec_lo, exec_lo, s4
	s_cbranch_execz .LBB11_105
.LBB11_97:                              ; =>This Loop Header: Depth=1
                                        ;     Child Loop BB11_100 Depth 2
	s_and_saveexec_b32 s7, s1
	s_cbranch_execz .LBB11_96
; %bb.98:                               ;   in Loop: Header=BB11_97 Depth=1
	v_mov_b32_e32 v11, v10
	v_mov_b32_e32 v12, v1
	s_mov_b32 s8, 0
	s_branch .LBB11_100
	.p2align	6
.LBB11_99:                              ;   in Loop: Header=BB11_100 Depth=2
	v_ashrrev_i32_e32 v8, 31, v7
	v_add_nc_u32_e32 v12, 2, v12
	v_lshlrev_b64 v[7:8], 3, v[7:8]
	v_add_co_u32 v7, vcc_lo, s12, v7
	v_add_co_ci_u32_e64 v8, null, s13, v8, vcc_lo
	v_cmp_le_i32_e32 vcc_lo, s25, v12
	global_load_dwordx2 v[7:8], v[7:8], off
	s_or_b32 s8, vcc_lo, s8
	s_waitcnt vmcnt(0)
	ds_write_b64 v11, v[7:8]
	v_add_nc_u32_e32 v11, 0x210, v11
	s_andn2_b32 exec_lo, exec_lo, s8
	s_cbranch_execz .LBB11_96
.LBB11_100:                             ;   Parent Loop BB11_97 Depth=1
                                        ; =>  This Inner Loop Header: Depth=2
	s_and_b32 vcc_lo, exec_lo, s5
	s_cbranch_vccz .LBB11_102
; %bb.101:                              ;   in Loop: Header=BB11_100 Depth=2
	v_add_nc_u32_e32 v7, s3, v12
	v_mad_u64_u32 v[7:8], null, v7, s25, v[6:7]
	s_cbranch_execnz .LBB11_99
	s_branch .LBB11_103
	.p2align	6
.LBB11_102:                             ;   in Loop: Header=BB11_100 Depth=2
                                        ; implicit-def: $vgpr7
.LBB11_103:                             ;   in Loop: Header=BB11_100 Depth=2
	v_add_nc_u32_e32 v7, v9, v12
	s_branch .LBB11_99
.LBB11_104:
	s_mov_b32 s23, -1
	s_branch .LBB11_190
.LBB11_105:
	s_inst_prefetch 0x2
	s_or_b32 exec_lo, exec_lo, s2
	s_cmp_lt_i32 s25, 1
	s_waitcnt lgkmcnt(0)
	s_waitcnt_vscnt null, 0x0
	buffer_gl0_inv
	s_cbranch_scc1 .LBB11_127
; %bb.106:
	v_cvt_f64_f32_e32 v[6:7], v14
	v_or_b32_e32 v8, v0, v1
	v_mul_u32_u24_e32 v9, 0x108, v1
	v_lshlrev_b32_e32 v11, 3, v0
	s_cmp_eq_u64 s[16:17], 8
	v_cmp_eq_u32_e64 s1, 0, v1
	s_cselect_b32 vcc_lo, -1, 0
	v_mad_u32_u24 v10, 0x108, v1, 0x108
	v_cmp_eq_u32_e64 s2, 0, v8
	v_add3_u32 v11, v9, v11, 0x110
	s_mov_b32 s4, 0
	v_cndmask_b32_e32 v5, v7, v5, vcc_lo
	v_cndmask_b32_e32 v4, v6, v4, vcc_lo
.LBB11_107:                             ; =>This Loop Header: Depth=1
                                        ;     Child Loop BB11_119 Depth 2
                                        ;       Child Loop BB11_123 Depth 3
	s_mul_i32 s5, s4, 0x108
	s_lshl_b32 s3, s4, 3
	s_mov_b32 s7, -1
	s_add_i32 s6, s5, s3
	s_andn2_b32 vcc_lo, exec_lo, s36
	v_mov_b32_e32 v6, s6
	s_mov_b32 s3, 0
	s_waitcnt lgkmcnt(0)
	ds_read_b64 v[8:9], v6
                                        ; implicit-def: $vgpr6_vgpr7
	s_cbranch_vccz .LBB11_112
; %bb.108:                              ;   in Loop: Header=BB11_107 Depth=1
	s_andn2_b32 vcc_lo, exec_lo, s7
	s_mov_b32 s7, 0
	s_cbranch_vccz .LBB11_115
.LBB11_109:                             ;   in Loop: Header=BB11_107 Depth=1
	s_andn2_b32 vcc_lo, exec_lo, s3
                                        ; implicit-def: $sgpr6
	s_cbranch_vccz .LBB11_116
.LBB11_110:                             ;   in Loop: Header=BB11_107 Depth=1
	s_andn2_b32 vcc_lo, exec_lo, s7
	s_cbranch_vccz .LBB11_125
.LBB11_111:                             ;   in Loop: Header=BB11_107 Depth=1
	v_add_nc_u32_e32 v11, 0x110, v11
	v_add_nc_u32_e32 v10, 0x110, v10
	s_cmp_eq_u32 s6, s25
	s_cbranch_scc0 .LBB11_126
	s_branch .LBB11_127
.LBB11_112:                             ;   in Loop: Header=BB11_107 Depth=1
	s_waitcnt lgkmcnt(0)
	v_cmp_ge_f64_e64 vcc_lo, v[4:5], |v[8:9]|
	buffer_gl0_inv
	v_cndmask_b32_e32 v7, v9, v3, vcc_lo
	v_cndmask_b32_e32 v6, v8, v2, vcc_lo
	s_and_saveexec_b32 s3, s2
; %bb.113:                              ;   in Loop: Header=BB11_107 Depth=1
	v_mov_b32_e32 v12, s6
	ds_write_b64 v12, v[6:7]
; %bb.114:                              ;   in Loop: Header=BB11_107 Depth=1
	s_or_b32 exec_lo, exec_lo, s3
	s_mov_b32 s3, -1
	s_mov_b32 s7, 0
	s_cbranch_execnz .LBB11_109
.LBB11_115:                             ;   in Loop: Header=BB11_107 Depth=1
	s_waitcnt lgkmcnt(0)
	v_cmp_neq_f64_e64 s3, 0, v[8:9]
	v_mov_b32_e32 v6, v8
	v_mov_b32_e32 v7, v9
	s_mov_b32 s7, -1
	s_andn2_b32 vcc_lo, exec_lo, s3
                                        ; implicit-def: $sgpr6
	s_cbranch_vccnz .LBB11_110
.LBB11_116:                             ;   in Loop: Header=BB11_107 Depth=1
	s_add_i32 s6, s4, 1
	s_mov_b32 s7, exec_lo
	v_add_nc_u32_e32 v12, s6, v0
	v_cmpx_gt_i32_e64 s25, v12
	s_cbranch_execz .LBB11_124
; %bb.117:                              ;   in Loop: Header=BB11_107 Depth=1
	v_add_nc_u32_e32 v13, s6, v1
	v_mov_b32_e32 v14, v11
	s_mov_b32 s8, 0
	v_cmp_gt_i32_e64 s3, s25, v13
	s_branch .LBB11_119
.LBB11_118:                             ;   in Loop: Header=BB11_119 Depth=2
	s_or_b32 exec_lo, exec_lo, s9
	v_add_nc_u32_e32 v12, 32, v12
	v_add_nc_u32_e32 v14, 0x100, v14
	v_cmp_le_i32_e32 vcc_lo, s25, v12
	s_or_b32 s8, vcc_lo, s8
	s_andn2_b32 exec_lo, exec_lo, s8
	s_cbranch_execz .LBB11_124
.LBB11_119:                             ;   Parent Loop BB11_107 Depth=1
                                        ; =>  This Loop Header: Depth=2
                                        ;       Child Loop BB11_123 Depth 3
	v_lshl_add_u32 v15, v12, 3, s5
	s_waitcnt lgkmcnt(0)
	ds_read_b64 v[8:9], v15
	s_waitcnt lgkmcnt(0)
	buffer_gl0_inv
	v_div_scale_f64 v[16:17], null, v[6:7], v[6:7], v[8:9]
	v_rcp_f64_e32 v[18:19], v[16:17]
	v_fma_f64 v[20:21], -v[16:17], v[18:19], 1.0
	v_fma_f64 v[18:19], v[18:19], v[20:21], v[18:19]
	v_fma_f64 v[20:21], -v[16:17], v[18:19], 1.0
	v_fma_f64 v[18:19], v[18:19], v[20:21], v[18:19]
	v_div_scale_f64 v[20:21], vcc_lo, v[8:9], v[6:7], v[8:9]
	v_mul_f64 v[22:23], v[20:21], v[18:19]
	v_fma_f64 v[16:17], -v[16:17], v[22:23], v[20:21]
	v_div_fmas_f64 v[16:17], v[16:17], v[18:19], v[22:23]
	v_div_fixup_f64 v[8:9], v[16:17], v[6:7], v[8:9]
	s_and_saveexec_b32 s9, s1
; %bb.120:                              ;   in Loop: Header=BB11_119 Depth=2
	ds_write_b64 v15, v[8:9]
; %bb.121:                              ;   in Loop: Header=BB11_119 Depth=2
	s_or_b32 exec_lo, exec_lo, s9
	s_and_saveexec_b32 s9, s3
	s_cbranch_execz .LBB11_118
; %bb.122:                              ;   in Loop: Header=BB11_119 Depth=2
	v_mov_b32_e32 v15, v10
	v_mov_b32_e32 v16, v14
	;; [unrolled: 1-line block ×3, first 2 shown]
	s_mov_b32 s10, 0
	.p2align	6
.LBB11_123:                             ;   Parent Loop BB11_107 Depth=1
                                        ;     Parent Loop BB11_119 Depth=2
                                        ; =>    This Inner Loop Header: Depth=3
	ds_read_b64 v[18:19], v15
	ds_read_b64 v[20:21], v16
	v_add_nc_u32_e32 v17, 2, v17
	v_add_nc_u32_e32 v15, 0x210, v15
	v_cmp_le_i32_e32 vcc_lo, s25, v17
	s_or_b32 s10, vcc_lo, s10
	s_waitcnt lgkmcnt(0)
	v_fma_f64 v[18:19], -v[8:9], v[18:19], v[20:21]
	ds_write_b64 v16, v[18:19]
	v_add_nc_u32_e32 v16, 0x210, v16
	s_andn2_b32 exec_lo, exec_lo, s10
	s_cbranch_execnz .LBB11_123
	s_branch .LBB11_118
.LBB11_124:                             ;   in Loop: Header=BB11_107 Depth=1
	s_or_b32 exec_lo, exec_lo, s7
	s_cbranch_execnz .LBB11_111
.LBB11_125:                             ;   in Loop: Header=BB11_107 Depth=1
	s_add_i32 s6, s4, 1
	s_mov_b32 s23, -1
	v_add_nc_u32_e32 v11, 0x110, v11
	v_add_nc_u32_e32 v10, 0x110, v10
	s_cmp_eq_u32 s6, s25
	s_cbranch_scc1 .LBB11_127
.LBB11_126:                             ;   in Loop: Header=BB11_107 Depth=1
	s_mov_b32 s4, s6
	s_branch .LBB11_107
.LBB11_127:
	s_waitcnt lgkmcnt(0)
	buffer_gl0_inv
	s_and_saveexec_b32 s2, s0
	s_cbranch_execz .LBB11_137
; %bb.128:
	s_mul_i32 s3, s28, s25
	v_lshlrev_b32_e32 v3, 3, v0
	v_add_nc_u32_e32 v2, s3, v0
	v_cmp_gt_u32_e64 s0, s25, v1
	s_cmp_lg_u32 s30, 0
	s_mov_b32 s4, 0
	v_mad_u32_u24 v8, 0x108, v1, v3
	v_mul_lo_u32 v7, s25, v2
	v_mov_b32_e32 v2, v0
	s_cselect_b32 s5, -1, 0
	s_lshl_b32 s6, s25, 5
	s_inst_prefetch 0x1
	s_branch .LBB11_130
	.p2align	6
.LBB11_129:                             ;   in Loop: Header=BB11_130 Depth=1
	s_or_b32 exec_lo, exec_lo, s7
	v_add_nc_u32_e32 v2, 32, v2
	v_add_nc_u32_e32 v7, s6, v7
	v_add_nc_u32_e32 v8, 0x100, v8
	v_cmp_le_i32_e32 vcc_lo, s25, v2
	s_or_b32 s4, vcc_lo, s4
	s_andn2_b32 exec_lo, exec_lo, s4
	s_cbranch_execz .LBB11_137
.LBB11_130:                             ; =>This Loop Header: Depth=1
                                        ;     Child Loop BB11_133 Depth 2
	s_and_saveexec_b32 s7, s0
	s_cbranch_execz .LBB11_129
; %bb.131:                              ;   in Loop: Header=BB11_130 Depth=1
	v_mov_b32_e32 v9, v8
	v_mov_b32_e32 v10, v1
	s_mov_b32 s8, 0
	s_branch .LBB11_133
	.p2align	6
.LBB11_132:                             ;   in Loop: Header=BB11_133 Depth=2
	v_ashrrev_i32_e32 v6, 31, v5
	v_add_nc_u32_e32 v10, 2, v10
	v_add_nc_u32_e32 v9, 0x210, v9
	v_lshlrev_b64 v[5:6], 3, v[5:6]
	v_cmp_le_i32_e32 vcc_lo, s25, v10
	s_or_b32 s8, vcc_lo, s8
	v_add_co_u32 v5, s1, s12, v5
	v_add_co_ci_u32_e64 v6, null, s13, v6, s1
	s_waitcnt lgkmcnt(0)
	global_store_dwordx2 v[5:6], v[3:4], off
	s_andn2_b32 exec_lo, exec_lo, s8
	s_cbranch_execz .LBB11_129
.LBB11_133:                             ;   Parent Loop BB11_130 Depth=1
                                        ; =>  This Inner Loop Header: Depth=2
	ds_read_b64 v[3:4], v9
	s_and_b32 vcc_lo, exec_lo, s5
	s_cbranch_vccz .LBB11_135
; %bb.134:                              ;   in Loop: Header=BB11_133 Depth=2
	v_add_nc_u32_e32 v5, s3, v10
	s_waitcnt lgkmcnt(0)
	v_mad_u64_u32 v[5:6], null, v5, s25, v[2:3]
	s_cbranch_execnz .LBB11_132
	s_branch .LBB11_136
	.p2align	6
.LBB11_135:                             ;   in Loop: Header=BB11_133 Depth=2
                                        ; implicit-def: $vgpr5
.LBB11_136:                             ;   in Loop: Header=BB11_133 Depth=2
	v_add_nc_u32_e32 v5, v7, v10
	s_branch .LBB11_132
.LBB11_137:
	s_inst_prefetch 0x2
	s_or_b32 exec_lo, exec_lo, s2
.LBB11_138:
	s_add_i32 s4, s28, 1
	s_cmp_ge_i32 s4, s33
	s_cbranch_scc1 .LBB11_190
; %bb.139:
	v_mad_u64_u32 v[2:3], null, s25, s4, v[0:1]
	v_lshlrev_b32_e32 v3, 3, v1
	s_cmp_lg_u32 s30, 0
	v_mul_u32_u24_e32 v4, 0x108, v1
	s_cselect_b32 s5, -1, 0
	s_cmp_gt_i32 s25, 0
	v_lshlrev_b32_e32 v5, 3, v0
	s_cselect_b32 s6, -1, 0
	s_cmp_lg_u32 s25, 1
	v_mad_u32_u24 v6, 0x108, v0, v3
	s_cselect_b32 s7, -1, 0
	s_and_b32 s8, s25, 0x7ffffffe
	s_bitcmp1_b32 s25, 0
	s_movk_i32 s3, 0x2108
	v_cmp_gt_i32_e64 s0, s25, v0
	v_cmp_le_i32_e64 s1, s25, v0
	v_cmp_gt_i32_e64 s2, s25, v1
	v_add_nc_u32_e32 v8, 1, v1
	v_mul_lo_u32 v9, s25, v2
	v_add3_u32 v10, v4, v5, 0x2100
	v_add_nc_u32_e32 v11, 0x2108, v6
	v_add_nc_u32_e32 v2, 8, v3
	;; [unrolled: 1-line block ×4, first 2 shown]
	v_mad_u32_u24 v14, 0x108, v0, s3
	s_cselect_b32 s9, -1, 0
	s_mul_i32 s10, s25, s25
	s_lshl_b32 s11, s25, 5
	s_branch .LBB11_142
.LBB11_140:                             ;   in Loop: Header=BB11_142 Depth=1
	s_inst_prefetch 0x2
	s_or_b32 exec_lo, exec_lo, s15
.LBB11_141:                             ;   in Loop: Header=BB11_142 Depth=1
	s_or_b32 exec_lo, exec_lo, s14
	v_add_nc_u32_e32 v9, s10, v9
	s_add_i32 s4, s4, 1
	s_cmp_ge_i32 s4, s33
	s_cbranch_scc1 .LBB11_190
.LBB11_142:                             ; =>This Loop Header: Depth=1
                                        ;     Child Loop BB11_145 Depth 2
                                        ;       Child Loop BB11_148 Depth 3
                                        ;     Child Loop BB11_156 Depth 2
                                        ;       Child Loop BB11_159 Depth 3
                                        ;         Child Loop BB11_161 Depth 4
                                        ;       Child Loop BB11_164 Depth 3
                                        ;         Child Loop BB11_166 Depth 4
                                        ;     Child Loop BB11_173 Depth 2
                                        ;       Child Loop BB11_175 Depth 3
                                        ;     Child Loop BB11_183 Depth 2
                                        ;       Child Loop BB11_186 Depth 3
	s_waitcnt lgkmcnt(0)
	s_waitcnt_vscnt null, 0x0
	buffer_gl0_inv
	s_and_saveexec_b32 s3, s0
	s_cbranch_execz .LBB11_152
; %bb.143:                              ;   in Loop: Header=BB11_142 Depth=1
	v_mov_b32_e32 v6, v10
	v_mov_b32_e32 v7, v9
	;; [unrolled: 1-line block ×3, first 2 shown]
	s_mul_i32 s14, s4, s25
	s_mov_b32 s15, 0
	s_inst_prefetch 0x1
	s_branch .LBB11_145
	.p2align	6
.LBB11_144:                             ;   in Loop: Header=BB11_145 Depth=2
	s_or_b32 exec_lo, exec_lo, s16
	v_add_nc_u32_e32 v3, 32, v3
	v_add_nc_u32_e32 v7, s11, v7
	;; [unrolled: 1-line block ×3, first 2 shown]
	v_cmp_le_i32_e32 vcc_lo, s25, v3
	s_or_b32 s15, vcc_lo, s15
	s_andn2_b32 exec_lo, exec_lo, s15
	s_cbranch_execz .LBB11_152
.LBB11_145:                             ;   Parent Loop BB11_142 Depth=1
                                        ; =>  This Loop Header: Depth=2
                                        ;       Child Loop BB11_148 Depth 3
	s_and_saveexec_b32 s16, s2
	s_cbranch_execz .LBB11_144
; %bb.146:                              ;   in Loop: Header=BB11_145 Depth=2
	v_mov_b32_e32 v15, v6
	v_mov_b32_e32 v16, v1
	s_mov_b32 s17, 0
	s_branch .LBB11_148
	.p2align	6
.LBB11_147:                             ;   in Loop: Header=BB11_148 Depth=3
	v_ashrrev_i32_e32 v5, 31, v4
	v_add_nc_u32_e32 v16, 2, v16
	v_lshlrev_b64 v[4:5], 3, v[4:5]
	v_add_co_u32 v4, vcc_lo, s12, v4
	v_add_co_ci_u32_e64 v5, null, s13, v5, vcc_lo
	v_cmp_le_i32_e32 vcc_lo, s25, v16
	global_load_dwordx2 v[4:5], v[4:5], off
	s_or_b32 s17, vcc_lo, s17
	s_waitcnt vmcnt(0)
	ds_write_b64 v15, v[4:5]
	v_add_nc_u32_e32 v15, 0x210, v15
	s_andn2_b32 exec_lo, exec_lo, s17
	s_cbranch_execz .LBB11_144
.LBB11_148:                             ;   Parent Loop BB11_142 Depth=1
                                        ;     Parent Loop BB11_145 Depth=2
                                        ; =>    This Inner Loop Header: Depth=3
	s_and_b32 vcc_lo, exec_lo, s5
	s_cbranch_vccz .LBB11_150
; %bb.149:                              ;   in Loop: Header=BB11_148 Depth=3
	v_add_nc_u32_e32 v4, s14, v16
	v_mad_u64_u32 v[4:5], null, v4, s25, v[3:4]
	s_cbranch_execnz .LBB11_147
	s_branch .LBB11_151
	.p2align	6
.LBB11_150:                             ;   in Loop: Header=BB11_148 Depth=3
                                        ; implicit-def: $vgpr4
.LBB11_151:                             ;   in Loop: Header=BB11_148 Depth=3
	v_add_nc_u32_e32 v4, v7, v16
	s_branch .LBB11_147
.LBB11_152:                             ;   in Loop: Header=BB11_142 Depth=1
	s_inst_prefetch 0x2
	s_or_b32 exec_lo, exec_lo, s3
	s_andn2_b32 vcc_lo, exec_lo, s6
	s_waitcnt lgkmcnt(0)
	buffer_gl0_inv
	s_cbranch_vccnz .LBB11_176
; %bb.153:                              ;   in Loop: Header=BB11_142 Depth=1
	s_andn2_b32 vcc_lo, exec_lo, s7
	s_mov_b32 s3, 0
	s_cbranch_vccnz .LBB11_167
; %bb.154:                              ;   in Loop: Header=BB11_142 Depth=1
	v_mov_b32_e32 v3, v13
	v_mov_b32_e32 v4, v12
	;; [unrolled: 1-line block ×4, first 2 shown]
	s_mov_b32 s14, 0
	s_branch .LBB11_156
.LBB11_155:                             ;   in Loop: Header=BB11_156 Depth=2
	s_inst_prefetch 0x2
	s_or_b32 exec_lo, exec_lo, s15
	v_add_nc_u32_e32 v6, 16, v6
	v_add_nc_u32_e32 v5, 0x220, v5
	;; [unrolled: 1-line block ×4, first 2 shown]
	s_add_i32 s14, s14, 2
	s_mov_b32 s3, s8
	s_cmp_eq_u32 s14, s8
	s_cbranch_scc1 .LBB11_167
.LBB11_156:                             ;   Parent Loop BB11_142 Depth=1
                                        ; =>  This Loop Header: Depth=2
                                        ;       Child Loop BB11_159 Depth 3
                                        ;         Child Loop BB11_161 Depth 4
                                        ;       Child Loop BB11_164 Depth 3
                                        ;         Child Loop BB11_166 Depth 4
	s_and_saveexec_b32 s15, s0
	s_cbranch_execz .LBB11_155
; %bb.157:                              ;   in Loop: Header=BB11_156 Depth=2
	v_add_nc_u32_e32 v7, s14, v8
	v_mov_b32_e32 v15, v6
	v_mov_b32_e32 v16, v0
	s_mov_b32 s17, 0
	s_lshl_b32 s16, s14, 3
	v_cmp_gt_i32_e32 vcc_lo, s25, v7
	s_inst_prefetch 0x1
	s_branch .LBB11_159
	.p2align	6
.LBB11_158:                             ;   in Loop: Header=BB11_159 Depth=3
	s_or_b32 exec_lo, exec_lo, s28
	v_add_nc_u32_e32 v16, 32, v16
	v_add_nc_u32_e32 v15, 0x2100, v15
	v_cmp_le_i32_e64 s3, s25, v16
	s_or_b32 s17, s3, s17
	s_andn2_b32 exec_lo, exec_lo, s17
	s_cbranch_execz .LBB11_162
.LBB11_159:                             ;   Parent Loop BB11_142 Depth=1
                                        ;     Parent Loop BB11_156 Depth=2
                                        ; =>    This Loop Header: Depth=3
                                        ;         Child Loop BB11_161 Depth 4
	s_and_saveexec_b32 s28, vcc_lo
	s_cbranch_execz .LBB11_158
; %bb.160:                              ;   in Loop: Header=BB11_159 Depth=3
	v_mul_lo_u32 v19, 0x108, v16
	v_mov_b32_e32 v17, v5
	v_mov_b32_e32 v18, v15
	;; [unrolled: 1-line block ×3, first 2 shown]
	s_mov_b32 s29, 0
	v_add3_u32 v19, 0x2100, s16, v19
	.p2align	6
.LBB11_161:                             ;   Parent Loop BB11_142 Depth=1
                                        ;     Parent Loop BB11_156 Depth=2
                                        ;       Parent Loop BB11_159 Depth=3
                                        ; =>      This Inner Loop Header: Depth=4
	ds_read_b64 v[21:22], v17
	ds_read_b64 v[23:24], v19
	;; [unrolled: 1-line block ×3, first 2 shown]
	v_add_nc_u32_e32 v20, 2, v20
	v_add_nc_u32_e32 v17, 16, v17
	v_cmp_le_i32_e64 s3, s25, v20
	s_or_b32 s29, s3, s29
	s_waitcnt lgkmcnt(0)
	v_fma_f64 v[21:22], -v[21:22], v[23:24], v[25:26]
	ds_write_b64 v18, v[21:22]
	v_add_nc_u32_e32 v18, 16, v18
	s_andn2_b32 exec_lo, exec_lo, s29
	s_cbranch_execnz .LBB11_161
	s_branch .LBB11_158
.LBB11_162:                             ;   in Loop: Header=BB11_156 Depth=2
	s_inst_prefetch 0x2
	s_or_b32 exec_lo, exec_lo, s17
	v_add3_u32 v7, v8, s14, 1
	v_mov_b32_e32 v15, v3
	v_mov_b32_e32 v16, v0
	s_mov_b32 s17, 0
	v_cmp_gt_i32_e32 vcc_lo, s25, v7
	s_inst_prefetch 0x1
	s_branch .LBB11_164
	.p2align	6
.LBB11_163:                             ;   in Loop: Header=BB11_164 Depth=3
	s_or_b32 exec_lo, exec_lo, s28
	v_add_nc_u32_e32 v16, 32, v16
	v_add_nc_u32_e32 v15, 0x2100, v15
	v_cmp_le_i32_e64 s3, s25, v16
	s_or_b32 s17, s3, s17
	s_andn2_b32 exec_lo, exec_lo, s17
	s_cbranch_execz .LBB11_155
.LBB11_164:                             ;   Parent Loop BB11_142 Depth=1
                                        ;     Parent Loop BB11_156 Depth=2
                                        ; =>    This Loop Header: Depth=3
                                        ;         Child Loop BB11_166 Depth 4
	s_and_saveexec_b32 s28, vcc_lo
	s_cbranch_execz .LBB11_163
; %bb.165:                              ;   in Loop: Header=BB11_164 Depth=3
	v_mul_lo_u32 v19, 0x108, v16
	v_mov_b32_e32 v17, v15
	v_mov_b32_e32 v18, v4
	;; [unrolled: 1-line block ×3, first 2 shown]
	s_mov_b32 s29, 0
	v_add3_u32 v19, 0x2100, s16, v19
	.p2align	6
.LBB11_166:                             ;   Parent Loop BB11_142 Depth=1
                                        ;     Parent Loop BB11_156 Depth=2
                                        ;       Parent Loop BB11_164 Depth=3
                                        ; =>      This Inner Loop Header: Depth=4
	ds_read_b64 v[21:22], v18
	ds_read_b64 v[23:24], v19 offset:8
	ds_read_b64 v[25:26], v17
	v_add_nc_u32_e32 v20, 2, v20
	v_add_nc_u32_e32 v18, 16, v18
	v_cmp_le_i32_e64 s3, s25, v20
	s_or_b32 s29, s3, s29
	s_waitcnt lgkmcnt(0)
	v_fma_f64 v[21:22], -v[21:22], v[23:24], v[25:26]
	ds_write_b64 v17, v[21:22]
	v_add_nc_u32_e32 v17, 16, v17
	s_andn2_b32 exec_lo, exec_lo, s29
	s_cbranch_execnz .LBB11_166
	s_branch .LBB11_163
.LBB11_167:                             ;   in Loop: Header=BB11_142 Depth=1
	s_andn2_b32 vcc_lo, exec_lo, s9
	s_mov_b32 s15, -1
	s_cbranch_vccnz .LBB11_177
; %bb.168:                              ;   in Loop: Header=BB11_142 Depth=1
	s_and_saveexec_b32 s14, s1
	s_xor_b32 s14, exec_lo, s14
	s_cbranch_execz .LBB11_170
; %bb.169:                              ;   in Loop: Header=BB11_142 Depth=1
	s_waitcnt lgkmcnt(0)
	buffer_gl0_inv
.LBB11_170:                             ;   in Loop: Header=BB11_142 Depth=1
	s_or_saveexec_b32 s14, s14
	s_mov_b32 s15, 0
	s_xor_b32 exec_lo, exec_lo, s14
	s_cbranch_execz .LBB11_179
; %bb.171:                              ;   in Loop: Header=BB11_142 Depth=1
	v_add_nc_u32_e32 v6, s3, v1
	v_mad_u64_u32 v[3:4], null, 0x110, s3, v[2:3]
	v_add_nc_u32_e32 v5, s3, v8
	s_lshl_b32 s16, s3, 3
	v_lshl_add_u32 v4, v6, 3, v14
	v_mov_b32_e32 v6, v0
	v_cmp_gt_i32_e32 vcc_lo, s25, v5
	s_inst_prefetch 0x1
	s_branch .LBB11_173
	.p2align	6
.LBB11_172:                             ;   in Loop: Header=BB11_173 Depth=2
	s_or_b32 exec_lo, exec_lo, s17
	v_add_nc_u32_e32 v6, 32, v6
	v_add_nc_u32_e32 v4, 0x2100, v4
	v_cmp_le_i32_e64 s3, s25, v6
	s_or_b32 s15, s3, s15
	s_andn2_b32 exec_lo, exec_lo, s15
	s_cbranch_execz .LBB11_178
.LBB11_173:                             ;   Parent Loop BB11_142 Depth=1
                                        ; =>  This Loop Header: Depth=2
                                        ;       Child Loop BB11_175 Depth 3
	s_and_saveexec_b32 s17, vcc_lo
	s_cbranch_execz .LBB11_172
; %bb.174:                              ;   in Loop: Header=BB11_173 Depth=2
	v_mul_lo_u32 v16, 0x108, v6
	v_mov_b32_e32 v7, v3
	v_mov_b32_e32 v15, v4
	;; [unrolled: 1-line block ×3, first 2 shown]
	s_mov_b32 s28, 0
	v_add3_u32 v16, 0x2100, s16, v16
	.p2align	6
.LBB11_175:                             ;   Parent Loop BB11_142 Depth=1
                                        ;     Parent Loop BB11_173 Depth=2
                                        ; =>    This Inner Loop Header: Depth=3
	ds_read_b64 v[18:19], v7
	ds_read_b64 v[20:21], v16
	;; [unrolled: 1-line block ×3, first 2 shown]
	v_add_nc_u32_e32 v17, 2, v17
	v_add_nc_u32_e32 v7, 16, v7
	v_cmp_le_i32_e64 s3, s25, v17
	s_or_b32 s28, s3, s28
	s_waitcnt lgkmcnt(0)
	v_fma_f64 v[18:19], -v[18:19], v[20:21], v[22:23]
	ds_write_b64 v15, v[18:19]
	v_add_nc_u32_e32 v15, 16, v15
	s_andn2_b32 exec_lo, exec_lo, s28
	s_cbranch_execnz .LBB11_175
	s_branch .LBB11_172
.LBB11_176:                             ;   in Loop: Header=BB11_142 Depth=1
	s_mov_b32 s15, -1
.LBB11_177:                             ;   in Loop: Header=BB11_142 Depth=1
	s_and_saveexec_b32 s3, s15
	s_xor_b32 s14, exec_lo, s3
	s_cbranch_execz .LBB11_141
	s_branch .LBB11_180
.LBB11_178:                             ;   in Loop: Header=BB11_142 Depth=1
	s_inst_prefetch 0x2
	s_or_b32 exec_lo, exec_lo, s15
	s_mov_b32 s15, exec_lo
.LBB11_179:                             ;   in Loop: Header=BB11_142 Depth=1
	s_or_b32 exec_lo, exec_lo, s14
	s_and_saveexec_b32 s3, s15
	s_xor_b32 s14, exec_lo, s3
	s_cbranch_execz .LBB11_141
.LBB11_180:                             ;   in Loop: Header=BB11_142 Depth=1
	s_waitcnt lgkmcnt(0)
	buffer_gl0_inv
	s_and_saveexec_b32 s15, s0
	s_cbranch_execz .LBB11_140
; %bb.181:                              ;   in Loop: Header=BB11_142 Depth=1
	v_mov_b32_e32 v15, v10
	v_mov_b32_e32 v16, v9
	;; [unrolled: 1-line block ×3, first 2 shown]
	s_mul_i32 s16, s4, s25
	s_mov_b32 s17, 0
	s_inst_prefetch 0x1
	s_branch .LBB11_183
	.p2align	6
.LBB11_182:                             ;   in Loop: Header=BB11_183 Depth=2
	s_or_b32 exec_lo, exec_lo, s28
	v_add_nc_u32_e32 v3, 32, v3
	v_add_nc_u32_e32 v16, s11, v16
	;; [unrolled: 1-line block ×3, first 2 shown]
	v_cmp_le_i32_e32 vcc_lo, s25, v3
	s_or_b32 s17, vcc_lo, s17
	s_andn2_b32 exec_lo, exec_lo, s17
	s_cbranch_execz .LBB11_140
.LBB11_183:                             ;   Parent Loop BB11_142 Depth=1
                                        ; =>  This Loop Header: Depth=2
                                        ;       Child Loop BB11_186 Depth 3
	s_and_saveexec_b32 s28, s2
	s_cbranch_execz .LBB11_182
; %bb.184:                              ;   in Loop: Header=BB11_183 Depth=2
	v_mov_b32_e32 v17, v15
	v_mov_b32_e32 v18, v1
	s_mov_b32 s29, 0
	s_branch .LBB11_186
	.p2align	6
.LBB11_185:                             ;   in Loop: Header=BB11_186 Depth=3
	v_ashrrev_i32_e32 v7, 31, v6
	v_add_nc_u32_e32 v18, 2, v18
	v_add_nc_u32_e32 v17, 0x210, v17
	v_lshlrev_b64 v[6:7], 3, v[6:7]
	v_cmp_le_i32_e32 vcc_lo, s25, v18
	s_or_b32 s29, vcc_lo, s29
	v_add_co_u32 v6, s3, s12, v6
	v_add_co_ci_u32_e64 v7, null, s13, v7, s3
	s_waitcnt lgkmcnt(0)
	global_store_dwordx2 v[6:7], v[4:5], off
	s_andn2_b32 exec_lo, exec_lo, s29
	s_cbranch_execz .LBB11_182
.LBB11_186:                             ;   Parent Loop BB11_142 Depth=1
                                        ;     Parent Loop BB11_183 Depth=2
                                        ; =>    This Inner Loop Header: Depth=3
	ds_read_b64 v[4:5], v17
	s_and_b32 vcc_lo, exec_lo, s5
	s_cbranch_vccz .LBB11_188
; %bb.187:                              ;   in Loop: Header=BB11_186 Depth=3
	v_add_nc_u32_e32 v6, s16, v18
	s_waitcnt lgkmcnt(0)
	v_mad_u64_u32 v[6:7], null, v6, s25, v[3:4]
	s_cbranch_execnz .LBB11_185
	s_branch .LBB11_189
	.p2align	6
.LBB11_188:                             ;   in Loop: Header=BB11_186 Depth=3
                                        ; implicit-def: $vgpr6
.LBB11_189:                             ;   in Loop: Header=BB11_186 Depth=3
	v_add_nc_u32_e32 v6, v16, v18
	s_branch .LBB11_185
.LBB11_190:
	v_or_b32_e32 v0, v0, v1
	s_mov_b32 s0, exec_lo
	v_cmpx_eq_u32_e32 0, v0
	s_cbranch_execz .LBB11_194
; %bb.191:
	v_mov_b32_e32 v0, 0
	v_mov_b32_e32 v1, 1
	s_add_u32 s0, s20, s26
	s_addc_u32 s1, s21, s27
	s_andn2_b32 vcc_lo, exec_lo, s23
	s_waitcnt vmcnt(0) lgkmcnt(0)
	s_waitcnt_vscnt null, 0x0
	global_store_dword v0, v1, s[0:1]
	s_cbranch_vccnz .LBB11_194
; %bb.192:
	v_mbcnt_lo_u32_b32 v0, exec_lo, 0
	v_cmp_eq_u32_e32 vcc_lo, 0, v0
	s_and_b32 exec_lo, exec_lo, vcc_lo
	s_cbranch_execz .LBB11_194
; %bb.193:
	s_add_i32 s0, s22, s24
	v_mov_b32_e32 v0, 0
	v_mov_b32_e32 v1, s0
	global_atomic_smin v0, v1, s[18:19]
.LBB11_194:
	s_endpgm
	.section	.rodata,"a",@progbits
	.p2align	6, 0x0
	.amdhsa_kernel _ZN9rocsparseL12bsrilu0_9_32ILj64ELj64ELj32EdEEv20rocsparse_direction_iPKiS3_PT2_S3_iPiS3_S6_21rocsparse_index_base_imNS_24const_host_device_scalarIfEENS8_IdEENS8_IS4_EEb
		.amdhsa_group_segment_fixed_size 16896
		.amdhsa_private_segment_fixed_size 0
		.amdhsa_kernarg_size 116
		.amdhsa_user_sgpr_count 6
		.amdhsa_user_sgpr_private_segment_buffer 1
		.amdhsa_user_sgpr_dispatch_ptr 0
		.amdhsa_user_sgpr_queue_ptr 0
		.amdhsa_user_sgpr_kernarg_segment_ptr 1
		.amdhsa_user_sgpr_dispatch_id 0
		.amdhsa_user_sgpr_flat_scratch_init 0
		.amdhsa_user_sgpr_private_segment_size 0
		.amdhsa_wavefront_size32 1
		.amdhsa_uses_dynamic_stack 0
		.amdhsa_system_sgpr_private_segment_wavefront_offset 0
		.amdhsa_system_sgpr_workgroup_id_x 1
		.amdhsa_system_sgpr_workgroup_id_y 0
		.amdhsa_system_sgpr_workgroup_id_z 0
		.amdhsa_system_sgpr_workgroup_info 0
		.amdhsa_system_vgpr_workitem_id 1
		.amdhsa_next_free_vgpr 193
		.amdhsa_next_free_sgpr 46
		.amdhsa_reserve_vcc 1
		.amdhsa_reserve_flat_scratch 0
		.amdhsa_float_round_mode_32 0
		.amdhsa_float_round_mode_16_64 0
		.amdhsa_float_denorm_mode_32 3
		.amdhsa_float_denorm_mode_16_64 3
		.amdhsa_dx10_clamp 1
		.amdhsa_ieee_mode 1
		.amdhsa_fp16_overflow 0
		.amdhsa_workgroup_processor_mode 1
		.amdhsa_memory_ordered 1
		.amdhsa_forward_progress 1
		.amdhsa_shared_vgpr_count 0
		.amdhsa_exception_fp_ieee_invalid_op 0
		.amdhsa_exception_fp_denorm_src 0
		.amdhsa_exception_fp_ieee_div_zero 0
		.amdhsa_exception_fp_ieee_overflow 0
		.amdhsa_exception_fp_ieee_underflow 0
		.amdhsa_exception_fp_ieee_inexact 0
		.amdhsa_exception_int_div_zero 0
	.end_amdhsa_kernel
	.section	.text._ZN9rocsparseL12bsrilu0_9_32ILj64ELj64ELj32EdEEv20rocsparse_direction_iPKiS3_PT2_S3_iPiS3_S6_21rocsparse_index_base_imNS_24const_host_device_scalarIfEENS8_IdEENS8_IS4_EEb,"axG",@progbits,_ZN9rocsparseL12bsrilu0_9_32ILj64ELj64ELj32EdEEv20rocsparse_direction_iPKiS3_PT2_S3_iPiS3_S6_21rocsparse_index_base_imNS_24const_host_device_scalarIfEENS8_IdEENS8_IS4_EEb,comdat
.Lfunc_end11:
	.size	_ZN9rocsparseL12bsrilu0_9_32ILj64ELj64ELj32EdEEv20rocsparse_direction_iPKiS3_PT2_S3_iPiS3_S6_21rocsparse_index_base_imNS_24const_host_device_scalarIfEENS8_IdEENS8_IS4_EEb, .Lfunc_end11-_ZN9rocsparseL12bsrilu0_9_32ILj64ELj64ELj32EdEEv20rocsparse_direction_iPKiS3_PT2_S3_iPiS3_S6_21rocsparse_index_base_imNS_24const_host_device_scalarIfEENS8_IdEENS8_IS4_EEb
                                        ; -- End function
	.set _ZN9rocsparseL12bsrilu0_9_32ILj64ELj64ELj32EdEEv20rocsparse_direction_iPKiS3_PT2_S3_iPiS3_S6_21rocsparse_index_base_imNS_24const_host_device_scalarIfEENS8_IdEENS8_IS4_EEb.num_vgpr, 37
	.set _ZN9rocsparseL12bsrilu0_9_32ILj64ELj64ELj32EdEEv20rocsparse_direction_iPKiS3_PT2_S3_iPiS3_S6_21rocsparse_index_base_imNS_24const_host_device_scalarIfEENS8_IdEENS8_IS4_EEb.num_agpr, 0
	.set _ZN9rocsparseL12bsrilu0_9_32ILj64ELj64ELj32EdEEv20rocsparse_direction_iPKiS3_PT2_S3_iPiS3_S6_21rocsparse_index_base_imNS_24const_host_device_scalarIfEENS8_IdEENS8_IS4_EEb.numbered_sgpr, 46
	.set _ZN9rocsparseL12bsrilu0_9_32ILj64ELj64ELj32EdEEv20rocsparse_direction_iPKiS3_PT2_S3_iPiS3_S6_21rocsparse_index_base_imNS_24const_host_device_scalarIfEENS8_IdEENS8_IS4_EEb.num_named_barrier, 0
	.set _ZN9rocsparseL12bsrilu0_9_32ILj64ELj64ELj32EdEEv20rocsparse_direction_iPKiS3_PT2_S3_iPiS3_S6_21rocsparse_index_base_imNS_24const_host_device_scalarIfEENS8_IdEENS8_IS4_EEb.private_seg_size, 0
	.set _ZN9rocsparseL12bsrilu0_9_32ILj64ELj64ELj32EdEEv20rocsparse_direction_iPKiS3_PT2_S3_iPiS3_S6_21rocsparse_index_base_imNS_24const_host_device_scalarIfEENS8_IdEENS8_IS4_EEb.uses_vcc, 1
	.set _ZN9rocsparseL12bsrilu0_9_32ILj64ELj64ELj32EdEEv20rocsparse_direction_iPKiS3_PT2_S3_iPiS3_S6_21rocsparse_index_base_imNS_24const_host_device_scalarIfEENS8_IdEENS8_IS4_EEb.uses_flat_scratch, 0
	.set _ZN9rocsparseL12bsrilu0_9_32ILj64ELj64ELj32EdEEv20rocsparse_direction_iPKiS3_PT2_S3_iPiS3_S6_21rocsparse_index_base_imNS_24const_host_device_scalarIfEENS8_IdEENS8_IS4_EEb.has_dyn_sized_stack, 0
	.set _ZN9rocsparseL12bsrilu0_9_32ILj64ELj64ELj32EdEEv20rocsparse_direction_iPKiS3_PT2_S3_iPiS3_S6_21rocsparse_index_base_imNS_24const_host_device_scalarIfEENS8_IdEENS8_IS4_EEb.has_recursion, 0
	.set _ZN9rocsparseL12bsrilu0_9_32ILj64ELj64ELj32EdEEv20rocsparse_direction_iPKiS3_PT2_S3_iPiS3_S6_21rocsparse_index_base_imNS_24const_host_device_scalarIfEENS8_IdEENS8_IS4_EEb.has_indirect_call, 0
	.section	.AMDGPU.csdata,"",@progbits
; Kernel info:
; codeLenInByte = 6188
; TotalNumSgprs: 48
; NumVgprs: 37
; ScratchSize: 0
; MemoryBound: 0
; FloatMode: 240
; IeeeMode: 1
; LDSByteSize: 16896 bytes/workgroup (compile time only)
; SGPRBlocks: 0
; VGPRBlocks: 24
; NumSGPRsForWavesPerEU: 48
; NumVGPRsForWavesPerEU: 193
; Occupancy: 4
; WaveLimiterHint : 1
; COMPUTE_PGM_RSRC2:SCRATCH_EN: 0
; COMPUTE_PGM_RSRC2:USER_SGPR: 6
; COMPUTE_PGM_RSRC2:TRAP_HANDLER: 0
; COMPUTE_PGM_RSRC2:TGID_X_EN: 1
; COMPUTE_PGM_RSRC2:TGID_Y_EN: 0
; COMPUTE_PGM_RSRC2:TGID_Z_EN: 0
; COMPUTE_PGM_RSRC2:TIDIG_COMP_CNT: 1
	.section	.text._ZN9rocsparseL13bsrilu0_33_64ILj64ELj64ELj64EdEEv20rocsparse_direction_iPKiS3_PT2_S3_iPiS3_S6_21rocsparse_index_base_imNS_24const_host_device_scalarIfEENS8_IdEENS8_IS4_EEb,"axG",@progbits,_ZN9rocsparseL13bsrilu0_33_64ILj64ELj64ELj64EdEEv20rocsparse_direction_iPKiS3_PT2_S3_iPiS3_S6_21rocsparse_index_base_imNS_24const_host_device_scalarIfEENS8_IdEENS8_IS4_EEb,comdat
	.globl	_ZN9rocsparseL13bsrilu0_33_64ILj64ELj64ELj64EdEEv20rocsparse_direction_iPKiS3_PT2_S3_iPiS3_S6_21rocsparse_index_base_imNS_24const_host_device_scalarIfEENS8_IdEENS8_IS4_EEb ; -- Begin function _ZN9rocsparseL13bsrilu0_33_64ILj64ELj64ELj64EdEEv20rocsparse_direction_iPKiS3_PT2_S3_iPiS3_S6_21rocsparse_index_base_imNS_24const_host_device_scalarIfEENS8_IdEENS8_IS4_EEb
	.p2align	8
	.type	_ZN9rocsparseL13bsrilu0_33_64ILj64ELj64ELj64EdEEv20rocsparse_direction_iPKiS3_PT2_S3_iPiS3_S6_21rocsparse_index_base_imNS_24const_host_device_scalarIfEENS8_IdEENS8_IS4_EEb,@function
_ZN9rocsparseL13bsrilu0_33_64ILj64ELj64ELj64EdEEv20rocsparse_direction_iPKiS3_PT2_S3_iPiS3_S6_21rocsparse_index_base_imNS_24const_host_device_scalarIfEENS8_IdEENS8_IS4_EEb: ; @_ZN9rocsparseL13bsrilu0_33_64ILj64ELj64ELj64EdEEv20rocsparse_direction_iPKiS3_PT2_S3_iPiS3_S6_21rocsparse_index_base_imNS_24const_host_device_scalarIfEENS8_IdEENS8_IS4_EEb
; %bb.0:
	s_clause 0x2
	s_load_dword s0, s[4:5], 0x70
	s_load_dwordx2 s[24:25], s[4:5], 0x48
	s_load_dwordx8 s[16:23], s[4:5], 0x50
	s_waitcnt lgkmcnt(0)
	s_bitcmp1_b32 s0, 0
	s_cselect_b32 s0, -1, 0
	s_cmp_eq_u32 s25, 0
	s_cselect_b32 s2, -1, 0
	s_cmp_lg_u32 s25, 0
	s_cselect_b32 s25, -1, 0
	s_or_b32 s7, s2, s0
	s_xor_b32 s3, s7, -1
	s_and_b32 s0, s2, exec_lo
	s_cselect_b32 s1, 0, s21
	s_cselect_b32 s0, 0, s20
	s_and_b32 vcc_lo, exec_lo, s7
	s_cbranch_vccnz .LBB12_2
; %bb.1:
	s_load_dword s0, s[18:19], 0x0
	s_waitcnt lgkmcnt(0)
	v_mov_b32_e32 v20, s0
	s_mov_b64 s[0:1], s[20:21]
	s_branch .LBB12_3
.LBB12_2:
	v_cndmask_b32_e64 v20, s18, 0, s2
.LBB12_3:
	v_mov_b32_e32 v5, s1
	v_cndmask_b32_e64 v2, 0, 1, s3
	v_mov_b32_e32 v4, s0
	s_andn2_b32 vcc_lo, exec_lo, s3
	s_cbranch_vccnz .LBB12_5
; %bb.4:
	v_mov_b32_e32 v3, s20
	v_mov_b32_e32 v4, s21
	flat_load_dwordx2 v[4:5], v[3:4]
.LBB12_5:
	s_and_b32 s0, s2, exec_lo
	s_cselect_b32 s1, 0, s23
	v_cmp_ne_u32_e32 vcc_lo, 1, v2
	s_cselect_b32 s0, 0, s22
	v_mov_b32_e32 v3, s1
	v_mov_b32_e32 v2, s0
	s_mov_b32 s7, 0
	s_cbranch_vccnz .LBB12_7
; %bb.6:
	v_mov_b32_e32 v2, s22
	v_mov_b32_e32 v3, s23
	flat_load_dwordx2 v[2:3], v[2:3]
.LBB12_7:
	s_clause 0x1
	s_load_dwordx4 s[20:23], s[4:5], 0x30
	s_load_dwordx2 s[18:19], s[4:5], 0x40
	s_lshl_b64 s[0:1], s[6:7], 2
	s_waitcnt lgkmcnt(0)
	s_add_u32 s0, s22, s0
	s_addc_u32 s1, s23, s1
	s_load_dword s22, s[0:1], 0x0
	s_load_dwordx8 s[8:15], s[4:5], 0x8
	s_waitcnt lgkmcnt(0)
	s_ashr_i32 s23, s22, 31
	s_lshl_b64 s[26:27], s[22:23], 2
	s_add_u32 s0, s14, s26
	s_addc_u32 s1, s15, s27
	s_load_dword s30, s[0:1], 0x0
	s_waitcnt lgkmcnt(0)
	s_cmp_eq_u32 s30, -1
	s_cbranch_scc1 .LBB12_101
; %bb.8:
	s_add_u32 s0, s8, s26
	s_addc_u32 s1, s9, s27
	s_mov_b32 s29, 0
	s_load_dwordx2 s[0:1], s[0:1], 0x0
	s_clause 0x1
	s_load_dwordx2 s[34:35], s[4:5], 0x0
	s_load_dword s28, s[4:5], 0x28
	s_waitcnt lgkmcnt(0)
	s_sub_i32 s36, s0, s24
	s_sub_i32 s23, s1, s24
	s_cmp_ge_i32 s36, s30
	s_cbranch_scc1 .LBB12_90
; %bb.9:
	v_lshl_or_b32 v6, v1, 6, v0
	v_mad_u64_u32 v[8:9], null, s28, s36, v[0:1]
	v_add_nc_u32_e32 v21, 1, v1
	v_lshlrev_b32_e32 v11, 3, v0
	v_add_nc_u32_e32 v6, s36, v6
	s_cmp_lg_u32 s34, 0
	v_cmp_gt_i32_e64 s0, s28, v0
	v_cmp_le_i32_e64 s1, s28, v0
	v_mul_lo_u32 v22, s28, v8
	v_ashrrev_i32_e32 v7, 31, v6
	v_cmp_gt_i32_e64 s2, s28, v1
	v_cmp_eq_u32_e64 s3, 0, v1
	v_cmp_gt_i32_e64 s4, s23, v6
	v_mul_u32_u24_e32 v23, 0x208, v1
	v_lshlrev_b64 v[9:10], 2, v[6:7]
	v_mad_u32_u24 v24, 0x208, v1, v11
	v_add_nc_u32_e32 v25, v21, v22
	v_mad_u32_u24 v26, 0x208, v1, 0x208
	v_mov_b32_e32 v27, 0
	s_cselect_b32 s33, -1, 0
	v_add_co_u32 v7, vcc_lo, s10, v9
	v_add_co_ci_u32_e64 v8, null, s11, v10, vcc_lo
	s_cmp_gt_i32 s28, 0
	s_mov_b32 s31, 0
	s_cselect_b32 s39, -1, 0
	s_add_i32 s35, s35, 1
	s_lshl_b32 s40, s28, 6
	s_mul_i32 s41, s28, s28
.LBB12_10:                              ; =>This Loop Header: Depth=1
                                        ;     Child Loop BB12_12 Depth 2
                                        ;     Child Loop BB12_16 Depth 2
                                        ;       Child Loop BB12_19 Depth 3
                                        ;     Child Loop BB12_26 Depth 2
                                        ;       Child Loop BB12_29 Depth 3
                                        ;         Child Loop BB12_40 Depth 4
                                        ;     Child Loop BB12_51 Depth 2
                                        ;       Child Loop BB12_56 Depth 3
                                        ;       Child Loop BB12_65 Depth 3
                                        ;         Child Loop BB12_68 Depth 4
                                        ;       Child Loop BB12_74 Depth 3
                                        ;         Child Loop BB12_77 Depth 4
                                        ;           Child Loop BB12_79 Depth 5
	s_ashr_i32 s37, s36, 31
	s_mov_b32 s29, -1
	s_lshl_b64 s[6:7], s[36:37], 2
	s_add_u32 s6, s10, s6
	s_addc_u32 s7, s11, s7
	global_load_dword v9, v27, s[6:7]
	s_waitcnt vmcnt(0)
	v_readfirstlane_b32 s5, v9
	s_sub_i32 s6, s5, s24
	s_ashr_i32 s7, s6, 31
	s_lshl_b64 s[6:7], s[6:7], 2
	s_add_u32 s42, s14, s6
	s_addc_u32 s43, s15, s7
	global_load_dword v9, v27, s[42:43]
	s_waitcnt vmcnt(0)
	v_cmp_eq_u32_e32 vcc_lo, -1, v9
	v_readfirstlane_b32 s42, v9
	v_cmp_ne_u32_e64 s5, -1, v9
	s_cbranch_vccnz .LBB12_88
; %bb.11:                               ;   in Loop: Header=BB12_10 Depth=1
	s_add_u32 s44, s8, s6
	s_addc_u32 s45, s9, s7
	s_add_u32 s6, s20, s6
	global_load_dword v9, v27, s[44:45] offset:4
	s_addc_u32 s7, s21, s7
	s_waitcnt vmcnt(0)
	v_readfirstlane_b32 s37, v9
.LBB12_12:                              ;   Parent Loop BB12_10 Depth=1
                                        ; =>  This Inner Loop Header: Depth=2
	global_load_dword v9, v27, s[6:7] glc dlc
	s_waitcnt vmcnt(0)
	v_cmp_eq_u32_e32 vcc_lo, 0, v9
	s_cbranch_vccnz .LBB12_12
; %bb.13:                               ;   in Loop: Header=BB12_10 Depth=1
	buffer_gl1_inv
	buffer_gl0_inv
	s_and_saveexec_b32 s6, s0
	s_cbranch_execz .LBB12_23
; %bb.14:                               ;   in Loop: Header=BB12_10 Depth=1
	s_mul_i32 s7, s42, s28
	v_mov_b32_e32 v13, v24
	v_add_nc_u32_e32 v9, s7, v0
	s_mov_b32 s29, 0
	s_waitcnt lgkmcnt(0)
	v_mul_lo_u32 v12, s28, v9
	v_mov_b32_e32 v9, v0
	s_inst_prefetch 0x1
	s_branch .LBB12_16
	.p2align	6
.LBB12_15:                              ;   in Loop: Header=BB12_16 Depth=2
	s_or_b32 exec_lo, exec_lo, s38
	v_add_nc_u32_e32 v9, 64, v9
	v_add_nc_u32_e32 v12, s40, v12
	;; [unrolled: 1-line block ×3, first 2 shown]
	v_cmp_le_i32_e32 vcc_lo, s28, v9
	s_or_b32 s29, vcc_lo, s29
	s_andn2_b32 exec_lo, exec_lo, s29
	s_cbranch_execz .LBB12_23
.LBB12_16:                              ;   Parent Loop BB12_10 Depth=1
                                        ; =>  This Loop Header: Depth=2
                                        ;       Child Loop BB12_19 Depth 3
	s_and_saveexec_b32 s38, s2
	s_cbranch_execz .LBB12_15
; %bb.17:                               ;   in Loop: Header=BB12_16 Depth=2
	v_mov_b32_e32 v14, v13
	v_mov_b32_e32 v15, v1
	s_mov_b32 s43, 0
	s_branch .LBB12_19
	.p2align	6
.LBB12_18:                              ;   in Loop: Header=BB12_19 Depth=3
	v_ashrrev_i32_e32 v11, 31, v10
	v_add_nc_u32_e32 v15, 1, v15
	v_lshlrev_b64 v[10:11], 3, v[10:11]
	v_add_co_u32 v10, vcc_lo, s12, v10
	v_add_co_ci_u32_e64 v11, null, s13, v11, vcc_lo
	v_cmp_le_i32_e32 vcc_lo, s28, v15
	global_load_dwordx2 v[10:11], v[10:11], off
	s_or_b32 s43, vcc_lo, s43
	s_waitcnt vmcnt(0)
	ds_write_b64 v14, v[10:11]
	v_add_nc_u32_e32 v14, 0x208, v14
	s_andn2_b32 exec_lo, exec_lo, s43
	s_cbranch_execz .LBB12_15
.LBB12_19:                              ;   Parent Loop BB12_10 Depth=1
                                        ;     Parent Loop BB12_16 Depth=2
                                        ; =>    This Inner Loop Header: Depth=3
	s_and_b32 vcc_lo, exec_lo, s33
	s_cbranch_vccz .LBB12_21
; %bb.20:                               ;   in Loop: Header=BB12_19 Depth=3
	v_add_nc_u32_e32 v10, s7, v15
	v_mad_u64_u32 v[10:11], null, v10, s28, v[9:10]
	s_cbranch_execnz .LBB12_18
	s_branch .LBB12_22
	.p2align	6
.LBB12_21:                              ;   in Loop: Header=BB12_19 Depth=3
                                        ; implicit-def: $vgpr10
.LBB12_22:                              ;   in Loop: Header=BB12_19 Depth=3
	v_add_nc_u32_e32 v10, v12, v15
	s_branch .LBB12_18
.LBB12_23:                              ;   in Loop: Header=BB12_10 Depth=1
	s_inst_prefetch 0x2
	s_or_b32 exec_lo, exec_lo, s6
	s_andn2_b32 vcc_lo, exec_lo, s39
	s_mul_i32 s29, s36, s28
	s_waitcnt lgkmcnt(0)
	buffer_gl0_inv
	s_cbranch_vccnz .LBB12_46
; %bb.24:                               ;   in Loop: Header=BB12_10 Depth=1
	v_mov_b32_e32 v28, v26
	v_mov_b32_e32 v29, v25
	s_mov_b32 s38, 0
	s_branch .LBB12_26
.LBB12_25:                              ;   in Loop: Header=BB12_26 Depth=2
	s_or_b32 exec_lo, exec_lo, s43
	v_add_nc_u32_e32 v29, 1, v29
	v_add_nc_u32_e32 v28, 0x210, v28
	s_add_i32 s38, s38, 1
	s_cmp_eq_u32 s38, s28
	s_cbranch_scc1 .LBB12_46
.LBB12_26:                              ;   Parent Loop BB12_10 Depth=1
                                        ; =>  This Loop Header: Depth=2
                                        ;       Child Loop BB12_29 Depth 3
                                        ;         Child Loop BB12_40 Depth 4
	s_and_saveexec_b32 s43, s0
	s_cbranch_execz .LBB12_25
; %bb.27:                               ;   in Loop: Header=BB12_26 Depth=2
	s_mul_i32 s6, s38, 0x208
	s_lshl_b32 s7, s38, 3
	v_add_nc_u32_e32 v30, s38, v21
	s_add_i32 s6, s6, s7
	v_mov_b32_e32 v31, v29
	v_mov_b32_e32 v9, s6
	;; [unrolled: 1-line block ×3, first 2 shown]
	v_cmp_gt_i32_e64 s6, s28, v30
	s_add_i32 s44, s38, s29
	s_mov_b32 s45, 0
	ds_read_b64 v[9:10], v9
	s_mul_i32 s44, s44, s28
	s_branch .LBB12_29
.LBB12_28:                              ;   in Loop: Header=BB12_29 Depth=3
	s_inst_prefetch 0x2
	s_or_b32 exec_lo, exec_lo, s46
	v_add_nc_u32_e32 v11, 64, v11
	v_add_nc_u32_e32 v31, s40, v31
	v_cmp_le_i32_e32 vcc_lo, s28, v11
	s_or_b32 s45, vcc_lo, s45
	s_andn2_b32 exec_lo, exec_lo, s45
	s_cbranch_execz .LBB12_25
.LBB12_29:                              ;   Parent Loop BB12_10 Depth=1
                                        ;     Parent Loop BB12_26 Depth=2
                                        ; =>    This Loop Header: Depth=3
                                        ;         Child Loop BB12_40 Depth 4
	s_and_b32 vcc_lo, exec_lo, s33
	s_cbranch_vccz .LBB12_44
; %bb.30:                               ;   in Loop: Header=BB12_29 Depth=3
	v_add_nc_u32_e32 v12, s44, v11
	s_cbranch_execnz .LBB12_32
.LBB12_31:                              ;   in Loop: Header=BB12_29 Depth=3
	v_add_nc_u32_e32 v12, s29, v11
	v_mad_u64_u32 v[12:13], null, v12, s28, s[38:39]
.LBB12_32:                              ;   in Loop: Header=BB12_29 Depth=3
	v_ashrrev_i32_e32 v13, 31, v12
	v_lshlrev_b64 v[12:13], 3, v[12:13]
	v_add_co_u32 v12, vcc_lo, s12, v12
	v_add_co_ci_u32_e64 v13, null, s13, v13, vcc_lo
	global_load_dwordx2 v[12:13], v[12:13], off
	s_waitcnt vmcnt(0) lgkmcnt(0)
	v_div_scale_f64 v[14:15], null, v[9:10], v[9:10], v[12:13]
	v_rcp_f64_e32 v[16:17], v[14:15]
	v_fma_f64 v[18:19], -v[14:15], v[16:17], 1.0
	v_fma_f64 v[16:17], v[16:17], v[18:19], v[16:17]
	v_fma_f64 v[18:19], -v[14:15], v[16:17], 1.0
	v_fma_f64 v[16:17], v[16:17], v[18:19], v[16:17]
	v_div_scale_f64 v[18:19], vcc_lo, v[12:13], v[9:10], v[12:13]
	v_mul_f64 v[32:33], v[18:19], v[16:17]
	v_fma_f64 v[14:15], -v[14:15], v[32:33], v[18:19]
	v_div_fmas_f64 v[14:15], v[14:15], v[16:17], v[32:33]
	v_div_fixup_f64 v[12:13], v[14:15], v[9:10], v[12:13]
	s_and_saveexec_b32 s7, s3
	s_cbranch_execz .LBB12_37
; %bb.33:                               ;   in Loop: Header=BB12_29 Depth=3
	s_and_b32 vcc_lo, exec_lo, s33
	s_cbranch_vccz .LBB12_45
; %bb.34:                               ;   in Loop: Header=BB12_29 Depth=3
	v_add_nc_u32_e32 v14, s44, v11
	s_cbranch_execnz .LBB12_36
.LBB12_35:                              ;   in Loop: Header=BB12_29 Depth=3
	v_add_nc_u32_e32 v14, s29, v11
	v_mad_u64_u32 v[14:15], null, v14, s28, s[38:39]
.LBB12_36:                              ;   in Loop: Header=BB12_29 Depth=3
	v_ashrrev_i32_e32 v15, 31, v14
	v_lshlrev_b64 v[14:15], 3, v[14:15]
	v_add_co_u32 v14, vcc_lo, s12, v14
	v_add_co_ci_u32_e64 v15, null, s13, v15, vcc_lo
	global_store_dwordx2 v[14:15], v[12:13], off
.LBB12_37:                              ;   in Loop: Header=BB12_29 Depth=3
	s_or_b32 exec_lo, exec_lo, s7
	s_and_saveexec_b32 s46, s6
	s_cbranch_execz .LBB12_28
; %bb.38:                               ;   in Loop: Header=BB12_29 Depth=3
	v_mov_b32_e32 v32, v28
	v_mov_b32_e32 v33, v31
	;; [unrolled: 1-line block ×3, first 2 shown]
	s_mov_b32 s47, 0
	s_inst_prefetch 0x1
	s_branch .LBB12_40
	.p2align	6
.LBB12_39:                              ;   in Loop: Header=BB12_40 Depth=4
	s_waitcnt vmcnt(0) lgkmcnt(0)
	v_fma_f64 v[14:15], -v[12:13], v[14:15], v[18:19]
	v_ashrrev_i32_e32 v17, 31, v16
	v_add_nc_u32_e32 v34, 1, v34
	v_add_nc_u32_e32 v33, 1, v33
	;; [unrolled: 1-line block ×3, first 2 shown]
	v_lshlrev_b64 v[16:17], 3, v[16:17]
	v_cmp_le_i32_e32 vcc_lo, s28, v34
	s_or_b32 s47, vcc_lo, s47
	v_add_co_u32 v16, s7, s12, v16
	v_add_co_ci_u32_e64 v17, null, s13, v17, s7
	global_store_dwordx2 v[16:17], v[14:15], off
	s_andn2_b32 exec_lo, exec_lo, s47
	s_cbranch_execz .LBB12_28
.LBB12_40:                              ;   Parent Loop BB12_10 Depth=1
                                        ;     Parent Loop BB12_26 Depth=2
                                        ;       Parent Loop BB12_29 Depth=3
                                        ; =>      This Inner Loop Header: Depth=4
	ds_read_b64 v[14:15], v32
	v_add_nc_u32_e32 v35, s29, v34
	v_mov_b32_e32 v16, v33
	s_andn2_b32 vcc_lo, exec_lo, s33
	s_cbranch_vccnz .LBB12_42
; %bb.41:                               ;   in Loop: Header=BB12_40 Depth=4
	v_mad_u64_u32 v[16:17], null, v35, s28, v[11:12]
.LBB12_42:                              ;   in Loop: Header=BB12_40 Depth=4
	v_ashrrev_i32_e32 v17, 31, v16
	v_lshlrev_b64 v[16:17], 3, v[16:17]
	v_add_co_u32 v16, vcc_lo, s12, v16
	v_add_co_ci_u32_e64 v17, null, s13, v17, vcc_lo
	s_andn2_b32 vcc_lo, exec_lo, s33
	global_load_dwordx2 v[18:19], v[16:17], off
	v_mov_b32_e32 v16, v33
	s_cbranch_vccnz .LBB12_39
; %bb.43:                               ;   in Loop: Header=BB12_40 Depth=4
	v_mad_u64_u32 v[16:17], null, v35, s28, v[11:12]
	s_branch .LBB12_39
.LBB12_44:                              ;   in Loop: Header=BB12_29 Depth=3
                                        ; implicit-def: $vgpr12
	s_branch .LBB12_31
.LBB12_45:                              ;   in Loop: Header=BB12_29 Depth=3
                                        ; implicit-def: $vgpr14
	s_branch .LBB12_35
.LBB12_46:                              ;   in Loop: Header=BB12_10 Depth=1
	s_sub_i32 s37, s37, s24
	s_add_i32 s6, s42, 1
	s_waitcnt_vscnt null, 0x0
	buffer_gl0_inv
	s_cmp_ge_i32 s6, s37
	s_cbranch_scc1 .LBB12_87
; %bb.47:                               ;   in Loop: Header=BB12_10 Depth=1
	v_mad_u64_u32 v[9:10], null, s28, s6, v[0:1]
	v_mul_lo_u32 v14, s28, v9
	s_branch .LBB12_51
.LBB12_48:                              ;   in Loop: Header=BB12_51 Depth=2
	s_or_b32 exec_lo, exec_lo, s38
.LBB12_49:                              ;   in Loop: Header=BB12_51 Depth=2
	s_or_b32 exec_lo, exec_lo, s7
.LBB12_50:                              ;   in Loop: Header=BB12_51 Depth=2
	v_add_nc_u32_e32 v14, s41, v14
	s_add_i32 s6, s6, 1
	s_cmp_lt_i32 s6, s37
	s_cbranch_scc0 .LBB12_87
.LBB12_51:                              ;   Parent Loop BB12_10 Depth=1
                                        ; =>  This Loop Header: Depth=2
                                        ;       Child Loop BB12_56 Depth 3
                                        ;       Child Loop BB12_65 Depth 3
                                        ;         Child Loop BB12_68 Depth 4
                                        ;       Child Loop BB12_74 Depth 3
                                        ;         Child Loop BB12_77 Depth 4
                                        ;           Child Loop BB12_79 Depth 5
	s_ashr_i32 s7, s6, 31
	v_mov_b32_e32 v10, s35
	s_lshl_b64 s[42:43], s[6:7], 2
	s_add_u32 s42, s10, s42
	s_addc_u32 s43, s11, s43
	global_load_dword v9, v27, s[42:43]
	s_and_saveexec_b32 s7, s4
	s_cbranch_execz .LBB12_53
; %bb.52:                               ;   in Loop: Header=BB12_51 Depth=2
	global_load_dword v10, v[7:8], off
	s_waitcnt vmcnt(0)
	v_subrev_nc_u32_e32 v10, s24, v10
.LBB12_53:                              ;   in Loop: Header=BB12_51 Depth=2
	s_or_b32 exec_lo, exec_lo, s7
	s_waitcnt vmcnt(0)
	v_subrev_nc_u32_e32 v11, s24, v9
	s_waitcnt lgkmcnt(0)
	v_mov_b32_e32 v12, v6
	s_mov_b32 s7, exec_lo
	v_cmpx_lt_i32_e64 v10, v11
	s_cbranch_execz .LBB12_59
; %bb.54:                               ;   in Loop: Header=BB12_51 Depth=2
	v_mov_b32_e32 v9, v6
	s_mov_b32 s38, 0
	s_branch .LBB12_56
	.p2align	6
.LBB12_55:                              ;   in Loop: Header=BB12_56 Depth=3
	s_or_b32 exec_lo, exec_lo, s42
	v_cmp_ge_i32_e32 vcc_lo, v10, v11
	v_mov_b32_e32 v9, v12
	s_or_b32 s38, vcc_lo, s38
	s_andn2_b32 exec_lo, exec_lo, s38
	s_cbranch_execz .LBB12_58
.LBB12_56:                              ;   Parent Loop BB12_10 Depth=1
                                        ;     Parent Loop BB12_51 Depth=2
                                        ; =>    This Inner Loop Header: Depth=3
	v_add_nc_u32_e32 v12, 64, v9
	v_mov_b32_e32 v10, s35
	s_mov_b32 s42, exec_lo
	v_cmpx_gt_i32_e64 s23, v12
	s_cbranch_execz .LBB12_55
; %bb.57:                               ;   in Loop: Header=BB12_56 Depth=3
	v_ashrrev_i32_e32 v10, 31, v9
	v_lshlrev_b64 v[9:10], 2, v[9:10]
	v_add_co_u32 v9, vcc_lo, s10, v9
	v_add_co_ci_u32_e64 v10, null, s11, v10, vcc_lo
	global_load_dword v9, v[9:10], off offset:256
	s_waitcnt vmcnt(0)
	v_subrev_nc_u32_e32 v10, s24, v9
	s_branch .LBB12_55
.LBB12_58:                              ;   in Loop: Header=BB12_51 Depth=2
	s_or_b32 exec_lo, exec_lo, s38
.LBB12_59:                              ;   in Loop: Header=BB12_51 Depth=2
	s_or_b32 exec_lo, exec_lo, s7
	v_cmp_eq_u32_e32 vcc_lo, v10, v11
	s_cbranch_vccz .LBB12_50
; %bb.60:                               ;   in Loop: Header=BB12_51 Depth=2
	s_ff1_i32_b32 s7, vcc_lo
	s_lshl_b32 s7, s7, 2
	v_mov_b32_e32 v9, s7
	ds_bpermute_b32 v12, v9, v12
	s_and_saveexec_b32 s7, s1
	s_xor_b32 s7, exec_lo, s7
	s_cbranch_execz .LBB12_62
; %bb.61:                               ;   in Loop: Header=BB12_51 Depth=2
	s_waitcnt lgkmcnt(0)
	buffer_gl0_inv
                                        ; implicit-def: $vgpr12
.LBB12_62:                              ;   in Loop: Header=BB12_51 Depth=2
	s_andn2_saveexec_b32 s7, s7
	s_cbranch_execz .LBB12_49
; %bb.63:                               ;   in Loop: Header=BB12_51 Depth=2
	v_mov_b32_e32 v13, v24
	v_mov_b32_e32 v15, v14
	;; [unrolled: 1-line block ×3, first 2 shown]
	s_mul_i32 s42, s6, s28
	s_mov_b32 s38, 0
	s_inst_prefetch 0x1
	s_branch .LBB12_65
	.p2align	6
.LBB12_64:                              ;   in Loop: Header=BB12_65 Depth=3
	s_or_b32 exec_lo, exec_lo, s43
	v_add_nc_u32_e32 v9, 64, v9
	v_add_nc_u32_e32 v15, s40, v15
	;; [unrolled: 1-line block ×3, first 2 shown]
	v_cmp_le_i32_e32 vcc_lo, s28, v9
	s_or_b32 s38, vcc_lo, s38
	s_andn2_b32 exec_lo, exec_lo, s38
	s_cbranch_execz .LBB12_72
.LBB12_65:                              ;   Parent Loop BB12_10 Depth=1
                                        ;     Parent Loop BB12_51 Depth=2
                                        ; =>    This Loop Header: Depth=3
                                        ;         Child Loop BB12_68 Depth 4
	s_and_saveexec_b32 s43, s2
	s_cbranch_execz .LBB12_64
; %bb.66:                               ;   in Loop: Header=BB12_65 Depth=3
	v_mov_b32_e32 v16, v13
	v_mov_b32_e32 v17, v1
	s_mov_b32 s44, 0
	s_branch .LBB12_68
	.p2align	6
.LBB12_67:                              ;   in Loop: Header=BB12_68 Depth=4
	v_ashrrev_i32_e32 v11, 31, v10
	v_add_nc_u32_e32 v17, 1, v17
	v_lshlrev_b64 v[10:11], 3, v[10:11]
	v_add_co_u32 v10, vcc_lo, s12, v10
	v_add_co_ci_u32_e64 v11, null, s13, v11, vcc_lo
	v_cmp_le_i32_e32 vcc_lo, s28, v17
	global_load_dwordx2 v[10:11], v[10:11], off
	s_or_b32 s44, vcc_lo, s44
	s_waitcnt vmcnt(0)
	ds_write_b64 v16, v[10:11]
	v_add_nc_u32_e32 v16, 0x208, v16
	s_andn2_b32 exec_lo, exec_lo, s44
	s_cbranch_execz .LBB12_64
.LBB12_68:                              ;   Parent Loop BB12_10 Depth=1
                                        ;     Parent Loop BB12_51 Depth=2
                                        ;       Parent Loop BB12_65 Depth=3
                                        ; =>      This Inner Loop Header: Depth=4
	s_and_b32 vcc_lo, exec_lo, s33
	s_cbranch_vccz .LBB12_70
; %bb.69:                               ;   in Loop: Header=BB12_68 Depth=4
	v_add_nc_u32_e32 v10, s42, v17
	v_mad_u64_u32 v[10:11], null, v10, s28, v[9:10]
	s_cbranch_execnz .LBB12_67
	s_branch .LBB12_71
	.p2align	6
.LBB12_70:                              ;   in Loop: Header=BB12_68 Depth=4
                                        ; implicit-def: $vgpr10
.LBB12_71:                              ;   in Loop: Header=BB12_68 Depth=4
	v_add_nc_u32_e32 v10, v15, v17
	s_branch .LBB12_67
.LBB12_72:                              ;   in Loop: Header=BB12_51 Depth=2
	s_inst_prefetch 0x2
	s_or_b32 exec_lo, exec_lo, s38
	s_waitcnt lgkmcnt(0)
	v_mul_lo_u32 v15, v12, s28
	v_mov_b32_e32 v16, v22
	v_mov_b32_e32 v9, v0
	s_mov_b32 s38, 0
	buffer_gl0_inv
	s_branch .LBB12_74
.LBB12_73:                              ;   in Loop: Header=BB12_74 Depth=3
	s_or_b32 exec_lo, exec_lo, s42
	v_add_nc_u32_e32 v9, 64, v9
	v_add_nc_u32_e32 v16, s40, v16
	v_cmp_le_i32_e32 vcc_lo, s28, v9
	s_or_b32 s38, vcc_lo, s38
	s_andn2_b32 exec_lo, exec_lo, s38
	s_cbranch_execz .LBB12_48
.LBB12_74:                              ;   Parent Loop BB12_10 Depth=1
                                        ;     Parent Loop BB12_51 Depth=2
                                        ; =>    This Loop Header: Depth=3
                                        ;         Child Loop BB12_77 Depth 4
                                        ;           Child Loop BB12_79 Depth 5
	s_and_saveexec_b32 s42, s2
	s_cbranch_execz .LBB12_73
; %bb.75:                               ;   in Loop: Header=BB12_74 Depth=3
	v_add_nc_u32_e32 v10, v9, v15
	v_mov_b32_e32 v18, v23
	v_mov_b32_e32 v19, v1
	s_mov_b32 s43, 0
	v_mul_lo_u32 v17, v10, s28
	s_branch .LBB12_77
.LBB12_76:                              ;   in Loop: Header=BB12_77 Depth=4
	v_ashrrev_i32_e32 v13, 31, v12
	v_add_nc_u32_e32 v19, 1, v19
	v_add_nc_u32_e32 v18, 0x208, v18
	v_lshlrev_b64 v[12:13], 3, v[12:13]
	v_add_co_u32 v12, vcc_lo, s12, v12
	v_add_co_ci_u32_e64 v13, null, s13, v13, vcc_lo
	v_cmp_le_i32_e32 vcc_lo, s28, v19
	global_load_dwordx2 v[28:29], v[12:13], off
	s_or_b32 s43, vcc_lo, s43
	s_waitcnt vmcnt(0)
	v_add_f64 v[10:11], v[28:29], -v[10:11]
	global_store_dwordx2 v[12:13], v[10:11], off
	s_andn2_b32 exec_lo, exec_lo, s43
	s_cbranch_execz .LBB12_73
.LBB12_77:                              ;   Parent Loop BB12_10 Depth=1
                                        ;     Parent Loop BB12_51 Depth=2
                                        ;       Parent Loop BB12_74 Depth=3
                                        ; =>      This Loop Header: Depth=4
                                        ;           Child Loop BB12_79 Depth 5
	v_mov_b32_e32 v10, 0
	v_mov_b32_e32 v11, 0
	v_mov_b32_e32 v28, v18
	s_mov_b32 s44, 0
	s_inst_prefetch 0x1
	s_branch .LBB12_79
	.p2align	6
.LBB12_78:                              ;   in Loop: Header=BB12_79 Depth=5
	v_ashrrev_i32_e32 v13, 31, v12
	ds_read_b64 v[29:30], v28
	v_add_nc_u32_e32 v28, 8, v28
	s_add_i32 s44, s44, 1
	s_cmp_eq_u32 s28, s44
	v_lshlrev_b64 v[12:13], 3, v[12:13]
	v_add_co_u32 v12, vcc_lo, s12, v12
	v_add_co_ci_u32_e64 v13, null, s13, v13, vcc_lo
	global_load_dwordx2 v[12:13], v[12:13], off
	s_waitcnt vmcnt(0) lgkmcnt(0)
	v_fma_f64 v[10:11], v[12:13], v[29:30], v[10:11]
	s_cbranch_scc1 .LBB12_83
.LBB12_79:                              ;   Parent Loop BB12_10 Depth=1
                                        ;     Parent Loop BB12_51 Depth=2
                                        ;       Parent Loop BB12_74 Depth=3
                                        ;         Parent Loop BB12_77 Depth=4
                                        ; =>        This Inner Loop Header: Depth=5
	s_and_b32 vcc_lo, exec_lo, s33
	s_cbranch_vccz .LBB12_81
; %bb.80:                               ;   in Loop: Header=BB12_79 Depth=5
	s_add_i32 s45, s44, s29
	v_mad_u64_u32 v[12:13], null, s45, s28, v[9:10]
	s_cbranch_execnz .LBB12_78
	s_branch .LBB12_82
	.p2align	6
.LBB12_81:                              ;   in Loop: Header=BB12_79 Depth=5
                                        ; implicit-def: $vgpr12
.LBB12_82:                              ;   in Loop: Header=BB12_79 Depth=5
	v_add_nc_u32_e32 v12, s44, v16
	s_branch .LBB12_78
.LBB12_83:                              ;   in Loop: Header=BB12_77 Depth=4
	s_inst_prefetch 0x2
	s_and_b32 vcc_lo, exec_lo, s33
	s_cbranch_vccz .LBB12_85
; %bb.84:                               ;   in Loop: Header=BB12_77 Depth=4
	v_add_nc_u32_e32 v12, v19, v15
	v_mad_u64_u32 v[12:13], null, v12, s28, v[9:10]
	s_cbranch_execnz .LBB12_76
	s_branch .LBB12_86
.LBB12_85:                              ;   in Loop: Header=BB12_77 Depth=4
                                        ; implicit-def: $vgpr12
.LBB12_86:                              ;   in Loop: Header=BB12_77 Depth=4
	v_add_nc_u32_e32 v12, v19, v17
	s_branch .LBB12_76
.LBB12_87:                              ;   in Loop: Header=BB12_10 Depth=1
	s_mov_b32 s29, s31
.LBB12_88:                              ;   in Loop: Header=BB12_10 Depth=1
	s_add_i32 s36, s36, 1
	v_add_nc_u32_e32 v25, s41, v25
	s_cmp_lt_i32 s36, s30
	v_add_nc_u32_e32 v22, s41, v22
	s_cselect_b32 s6, -1, 0
	s_and_b32 s5, s5, s6
	s_and_b32 vcc_lo, exec_lo, s5
	s_cbranch_vccz .LBB12_90
; %bb.89:                               ;   in Loop: Header=BB12_10 Depth=1
	s_mov_b32 s31, s29
	s_branch .LBB12_10
.LBB12_90:
	s_ashr_i32 s31, s30, 31
	v_mov_b32_e32 v6, 0
	s_lshl_b64 s[0:1], s[30:31], 2
	s_waitcnt vmcnt(0) lgkmcnt(0)
	s_waitcnt_vscnt null, 0x0
	buffer_gl0_inv
	s_add_u32 s0, s10, s0
	s_addc_u32 s1, s11, s1
	global_load_dword v6, v6, s[0:1]
	s_waitcnt vmcnt(0)
	v_subrev_nc_u32_e32 v6, s24, v6
	v_cmp_ne_u32_e32 vcc_lo, s22, v6
	s_cbranch_vccnz .LBB12_135
; %bb.91:
	v_cmp_gt_i32_e64 s0, s28, v0
	s_and_saveexec_b32 s2, s0
	s_cbranch_execz .LBB12_102
; %bb.92:
	s_mul_i32 s3, s30, s28
	v_lshlrev_b32_e32 v7, 3, v0
	v_add_nc_u32_e32 v6, s3, v0
	v_cmp_gt_u32_e64 s1, s28, v1
	s_cmp_lg_u32 s34, 0
	s_mov_b32 s4, 0
	v_mad_u32_u24 v10, 0x208, v1, v7
	v_mul_lo_u32 v9, s28, v6
	v_mov_b32_e32 v6, v0
	s_cselect_b32 s5, -1, 0
	s_lshl_b32 s6, s28, 6
	s_inst_prefetch 0x1
	s_branch .LBB12_94
	.p2align	6
.LBB12_93:                              ;   in Loop: Header=BB12_94 Depth=1
	s_or_b32 exec_lo, exec_lo, s7
	v_add_nc_u32_e32 v6, 64, v6
	v_add_nc_u32_e32 v9, s6, v9
	;; [unrolled: 1-line block ×3, first 2 shown]
	v_cmp_le_i32_e32 vcc_lo, s28, v6
	s_or_b32 s4, vcc_lo, s4
	s_andn2_b32 exec_lo, exec_lo, s4
	s_cbranch_execz .LBB12_102
.LBB12_94:                              ; =>This Loop Header: Depth=1
                                        ;     Child Loop BB12_97 Depth 2
	s_and_saveexec_b32 s7, s1
	s_cbranch_execz .LBB12_93
; %bb.95:                               ;   in Loop: Header=BB12_94 Depth=1
	v_mov_b32_e32 v11, v10
	v_mov_b32_e32 v12, v1
	s_mov_b32 s8, 0
	s_branch .LBB12_97
	.p2align	6
.LBB12_96:                              ;   in Loop: Header=BB12_97 Depth=2
	v_ashrrev_i32_e32 v8, 31, v7
	v_add_nc_u32_e32 v12, 1, v12
	v_lshlrev_b64 v[7:8], 3, v[7:8]
	v_add_co_u32 v7, vcc_lo, s12, v7
	v_add_co_ci_u32_e64 v8, null, s13, v8, vcc_lo
	v_cmp_le_i32_e32 vcc_lo, s28, v12
	global_load_dwordx2 v[7:8], v[7:8], off
	s_or_b32 s8, vcc_lo, s8
	s_waitcnt vmcnt(0)
	ds_write_b64 v11, v[7:8]
	v_add_nc_u32_e32 v11, 0x208, v11
	s_andn2_b32 exec_lo, exec_lo, s8
	s_cbranch_execz .LBB12_93
.LBB12_97:                              ;   Parent Loop BB12_94 Depth=1
                                        ; =>  This Inner Loop Header: Depth=2
	s_and_b32 vcc_lo, exec_lo, s5
	s_cbranch_vccz .LBB12_99
; %bb.98:                               ;   in Loop: Header=BB12_97 Depth=2
	v_add_nc_u32_e32 v7, s3, v12
	v_mad_u64_u32 v[7:8], null, v7, s28, v[6:7]
	s_cbranch_execnz .LBB12_96
	s_branch .LBB12_100
	.p2align	6
.LBB12_99:                              ;   in Loop: Header=BB12_97 Depth=2
                                        ; implicit-def: $vgpr7
.LBB12_100:                             ;   in Loop: Header=BB12_97 Depth=2
	v_add_nc_u32_e32 v7, v9, v12
	s_branch .LBB12_96
.LBB12_101:
	s_mov_b32 s29, -1
	s_branch .LBB12_170
.LBB12_102:
	s_inst_prefetch 0x2
	s_or_b32 exec_lo, exec_lo, s2
	s_cmp_lt_i32 s28, 1
	s_waitcnt lgkmcnt(0)
	buffer_gl0_inv
	s_cbranch_scc1 .LBB12_124
; %bb.103:
	v_cvt_f64_f32_e32 v[6:7], v20
	v_or_b32_e32 v8, v0, v1
	v_mul_u32_u24_e32 v9, 0x208, v1
	v_lshlrev_b32_e32 v11, 3, v0
	s_cmp_eq_u64 s[16:17], 8
	v_cmp_eq_u32_e64 s1, 0, v1
	s_cselect_b32 vcc_lo, -1, 0
	v_mad_u32_u24 v10, 0x208, v1, 0x208
	v_cmp_eq_u32_e64 s2, 0, v8
	v_add3_u32 v11, v9, v11, 0x210
	s_mov_b32 s4, 0
	v_cndmask_b32_e32 v5, v7, v5, vcc_lo
	v_cndmask_b32_e32 v4, v6, v4, vcc_lo
.LBB12_104:                             ; =>This Loop Header: Depth=1
                                        ;     Child Loop BB12_116 Depth 2
                                        ;       Child Loop BB12_120 Depth 3
	s_mul_i32 s5, s4, 0x208
	s_lshl_b32 s3, s4, 3
	s_mov_b32 s7, -1
	s_add_i32 s6, s5, s3
	s_andn2_b32 vcc_lo, exec_lo, s25
	v_mov_b32_e32 v6, s6
	s_mov_b32 s3, 0
	s_waitcnt lgkmcnt(0)
	ds_read_b64 v[8:9], v6
                                        ; implicit-def: $vgpr6_vgpr7
	s_cbranch_vccz .LBB12_109
; %bb.105:                              ;   in Loop: Header=BB12_104 Depth=1
	s_andn2_b32 vcc_lo, exec_lo, s7
	s_mov_b32 s7, 0
	s_cbranch_vccz .LBB12_112
.LBB12_106:                             ;   in Loop: Header=BB12_104 Depth=1
	s_andn2_b32 vcc_lo, exec_lo, s3
                                        ; implicit-def: $sgpr6
	s_cbranch_vccz .LBB12_113
.LBB12_107:                             ;   in Loop: Header=BB12_104 Depth=1
	s_andn2_b32 vcc_lo, exec_lo, s7
	s_cbranch_vccz .LBB12_122
.LBB12_108:                             ;   in Loop: Header=BB12_104 Depth=1
	v_add_nc_u32_e32 v11, 0x210, v11
	v_add_nc_u32_e32 v10, 0x210, v10
	s_cmp_eq_u32 s6, s28
	s_cbranch_scc0 .LBB12_123
	s_branch .LBB12_124
.LBB12_109:                             ;   in Loop: Header=BB12_104 Depth=1
	s_waitcnt lgkmcnt(0)
	v_cmp_ge_f64_e64 vcc_lo, v[4:5], |v[8:9]|
	buffer_gl0_inv
	v_cndmask_b32_e32 v7, v9, v3, vcc_lo
	v_cndmask_b32_e32 v6, v8, v2, vcc_lo
	s_and_saveexec_b32 s3, s2
; %bb.110:                              ;   in Loop: Header=BB12_104 Depth=1
	v_mov_b32_e32 v12, s6
	ds_write_b64 v12, v[6:7]
; %bb.111:                              ;   in Loop: Header=BB12_104 Depth=1
	s_or_b32 exec_lo, exec_lo, s3
	s_mov_b32 s3, -1
	s_mov_b32 s7, 0
	s_cbranch_execnz .LBB12_106
.LBB12_112:                             ;   in Loop: Header=BB12_104 Depth=1
	s_waitcnt lgkmcnt(0)
	v_cmp_neq_f64_e64 s3, 0, v[8:9]
	v_mov_b32_e32 v6, v8
	v_mov_b32_e32 v7, v9
	s_mov_b32 s7, -1
	s_andn2_b32 vcc_lo, exec_lo, s3
                                        ; implicit-def: $sgpr6
	s_cbranch_vccnz .LBB12_107
.LBB12_113:                             ;   in Loop: Header=BB12_104 Depth=1
	s_add_i32 s6, s4, 1
	s_mov_b32 s7, exec_lo
	v_add_nc_u32_e32 v12, s6, v0
	v_cmpx_gt_i32_e64 s28, v12
	s_cbranch_execz .LBB12_121
; %bb.114:                              ;   in Loop: Header=BB12_104 Depth=1
	v_add_nc_u32_e32 v13, s6, v1
	v_mov_b32_e32 v14, v11
	s_mov_b32 s8, 0
	v_cmp_gt_i32_e64 s3, s28, v13
	s_branch .LBB12_116
.LBB12_115:                             ;   in Loop: Header=BB12_116 Depth=2
	s_or_b32 exec_lo, exec_lo, s9
	v_add_nc_u32_e32 v12, 64, v12
	v_add_nc_u32_e32 v14, 0x200, v14
	v_cmp_le_i32_e32 vcc_lo, s28, v12
	s_or_b32 s8, vcc_lo, s8
	s_andn2_b32 exec_lo, exec_lo, s8
	s_cbranch_execz .LBB12_121
.LBB12_116:                             ;   Parent Loop BB12_104 Depth=1
                                        ; =>  This Loop Header: Depth=2
                                        ;       Child Loop BB12_120 Depth 3
	v_lshl_add_u32 v15, v12, 3, s5
	s_waitcnt lgkmcnt(0)
	ds_read_b64 v[8:9], v15
	s_waitcnt lgkmcnt(0)
	buffer_gl0_inv
	v_div_scale_f64 v[16:17], null, v[6:7], v[6:7], v[8:9]
	v_rcp_f64_e32 v[18:19], v[16:17]
	v_fma_f64 v[20:21], -v[16:17], v[18:19], 1.0
	v_fma_f64 v[18:19], v[18:19], v[20:21], v[18:19]
	v_fma_f64 v[20:21], -v[16:17], v[18:19], 1.0
	v_fma_f64 v[18:19], v[18:19], v[20:21], v[18:19]
	v_div_scale_f64 v[20:21], vcc_lo, v[8:9], v[6:7], v[8:9]
	v_mul_f64 v[22:23], v[20:21], v[18:19]
	v_fma_f64 v[16:17], -v[16:17], v[22:23], v[20:21]
	v_div_fmas_f64 v[16:17], v[16:17], v[18:19], v[22:23]
	v_div_fixup_f64 v[8:9], v[16:17], v[6:7], v[8:9]
	s_and_saveexec_b32 s9, s1
; %bb.117:                              ;   in Loop: Header=BB12_116 Depth=2
	ds_write_b64 v15, v[8:9]
; %bb.118:                              ;   in Loop: Header=BB12_116 Depth=2
	s_or_b32 exec_lo, exec_lo, s9
	s_and_saveexec_b32 s9, s3
	s_cbranch_execz .LBB12_115
; %bb.119:                              ;   in Loop: Header=BB12_116 Depth=2
	v_mov_b32_e32 v15, v10
	v_mov_b32_e32 v16, v14
	;; [unrolled: 1-line block ×3, first 2 shown]
	s_mov_b32 s10, 0
	.p2align	6
.LBB12_120:                             ;   Parent Loop BB12_104 Depth=1
                                        ;     Parent Loop BB12_116 Depth=2
                                        ; =>    This Inner Loop Header: Depth=3
	ds_read_b64 v[18:19], v15
	ds_read_b64 v[20:21], v16
	v_add_nc_u32_e32 v17, 1, v17
	v_add_nc_u32_e32 v15, 0x208, v15
	v_cmp_le_i32_e32 vcc_lo, s28, v17
	s_or_b32 s10, vcc_lo, s10
	s_waitcnt lgkmcnt(0)
	v_fma_f64 v[18:19], -v[8:9], v[18:19], v[20:21]
	ds_write_b64 v16, v[18:19]
	v_add_nc_u32_e32 v16, 0x208, v16
	s_andn2_b32 exec_lo, exec_lo, s10
	s_cbranch_execnz .LBB12_120
	s_branch .LBB12_115
.LBB12_121:                             ;   in Loop: Header=BB12_104 Depth=1
	s_or_b32 exec_lo, exec_lo, s7
	s_cbranch_execnz .LBB12_108
.LBB12_122:                             ;   in Loop: Header=BB12_104 Depth=1
	s_add_i32 s6, s4, 1
	s_mov_b32 s29, -1
	v_add_nc_u32_e32 v11, 0x210, v11
	v_add_nc_u32_e32 v10, 0x210, v10
	s_cmp_eq_u32 s6, s28
	s_cbranch_scc1 .LBB12_124
.LBB12_123:                             ;   in Loop: Header=BB12_104 Depth=1
	s_mov_b32 s4, s6
	s_branch .LBB12_104
.LBB12_124:
	s_waitcnt lgkmcnt(0)
	buffer_gl0_inv
	s_and_saveexec_b32 s2, s0
	s_cbranch_execz .LBB12_134
; %bb.125:
	s_mul_i32 s3, s30, s28
	v_lshlrev_b32_e32 v3, 3, v0
	v_add_nc_u32_e32 v2, s3, v0
	v_cmp_gt_u32_e64 s0, s28, v1
	s_cmp_lg_u32 s34, 0
	s_mov_b32 s4, 0
	v_mad_u32_u24 v8, 0x208, v1, v3
	v_mul_lo_u32 v7, s28, v2
	v_mov_b32_e32 v2, v0
	s_cselect_b32 s5, -1, 0
	s_lshl_b32 s6, s28, 6
	s_inst_prefetch 0x1
	s_branch .LBB12_127
	.p2align	6
.LBB12_126:                             ;   in Loop: Header=BB12_127 Depth=1
	s_or_b32 exec_lo, exec_lo, s7
	v_add_nc_u32_e32 v2, 64, v2
	v_add_nc_u32_e32 v7, s6, v7
	;; [unrolled: 1-line block ×3, first 2 shown]
	v_cmp_le_i32_e32 vcc_lo, s28, v2
	s_or_b32 s4, vcc_lo, s4
	s_andn2_b32 exec_lo, exec_lo, s4
	s_cbranch_execz .LBB12_134
.LBB12_127:                             ; =>This Loop Header: Depth=1
                                        ;     Child Loop BB12_130 Depth 2
	s_and_saveexec_b32 s7, s0
	s_cbranch_execz .LBB12_126
; %bb.128:                              ;   in Loop: Header=BB12_127 Depth=1
	v_mov_b32_e32 v9, v8
	v_mov_b32_e32 v10, v1
	s_mov_b32 s8, 0
	s_branch .LBB12_130
	.p2align	6
.LBB12_129:                             ;   in Loop: Header=BB12_130 Depth=2
	v_ashrrev_i32_e32 v6, 31, v5
	v_add_nc_u32_e32 v10, 1, v10
	v_add_nc_u32_e32 v9, 0x208, v9
	v_lshlrev_b64 v[5:6], 3, v[5:6]
	v_cmp_le_i32_e32 vcc_lo, s28, v10
	s_or_b32 s8, vcc_lo, s8
	v_add_co_u32 v5, s1, s12, v5
	v_add_co_ci_u32_e64 v6, null, s13, v6, s1
	s_waitcnt lgkmcnt(0)
	global_store_dwordx2 v[5:6], v[3:4], off
	s_andn2_b32 exec_lo, exec_lo, s8
	s_cbranch_execz .LBB12_126
.LBB12_130:                             ;   Parent Loop BB12_127 Depth=1
                                        ; =>  This Inner Loop Header: Depth=2
	ds_read_b64 v[3:4], v9
	s_and_b32 vcc_lo, exec_lo, s5
	s_cbranch_vccz .LBB12_132
; %bb.131:                              ;   in Loop: Header=BB12_130 Depth=2
	v_add_nc_u32_e32 v5, s3, v10
	s_waitcnt lgkmcnt(0)
	v_mad_u64_u32 v[5:6], null, v5, s28, v[2:3]
	s_cbranch_execnz .LBB12_129
	s_branch .LBB12_133
	.p2align	6
.LBB12_132:                             ;   in Loop: Header=BB12_130 Depth=2
                                        ; implicit-def: $vgpr5
.LBB12_133:                             ;   in Loop: Header=BB12_130 Depth=2
	v_add_nc_u32_e32 v5, v7, v10
	s_branch .LBB12_129
.LBB12_134:
	s_inst_prefetch 0x2
	s_or_b32 exec_lo, exec_lo, s2
.LBB12_135:
	s_add_i32 s3, s30, 1
	s_cmp_ge_i32 s3, s23
	s_cbranch_scc1 .LBB12_170
; %bb.136:
	v_mad_u64_u32 v[2:3], null, s28, s3, v[0:1]
	s_mul_i32 s5, s30, s28
	v_lshlrev_b32_e32 v3, 3, v0
	v_add_nc_u32_e32 v4, s5, v1
	v_mul_u32_u24_e32 v5, 0x208, v0
	v_lshlrev_b32_e32 v6, 3, v1
	s_cmp_lg_u32 s34, 0
	v_cmp_gt_i32_e64 s0, s28, v0
	s_cselect_b32 s4, -1, 0
	s_cmp_gt_i32 s28, 0
	v_cmp_gt_i32_e64 s1, s28, v1
	v_add_nc_u32_e32 v8, 1, v1
	v_mul_lo_u32 v9, s28, v2
	v_mad_u32_u24 v10, 0x208, v1, v3
	v_mad_u64_u32 v[2:3], null, s28, v4, s[28:29]
	v_add3_u32 v11, v5, v6, 8
	s_cselect_b32 s6, -1, 0
	s_mul_i32 s7, s28, s28
	s_lshl_b32 s8, s28, 6
	s_add_i32 s9, s28, 1
.LBB12_137:                             ; =>This Loop Header: Depth=1
                                        ;     Child Loop BB12_140 Depth 2
                                        ;       Child Loop BB12_143 Depth 3
                                        ;     Child Loop BB12_150 Depth 2
                                        ;       Child Loop BB12_153 Depth 3
                                        ;         Child Loop BB12_156 Depth 4
                                        ;     Child Loop BB12_161 Depth 2
                                        ;       Child Loop BB12_164 Depth 3
	s_mul_i32 s10, s3, s28
	s_waitcnt_vscnt null, 0x0
	buffer_gl0_inv
	s_and_saveexec_b32 s2, s0
	s_cbranch_execz .LBB12_147
; %bb.138:                              ;   in Loop: Header=BB12_137 Depth=1
	v_mov_b32_e32 v6, v10
	v_mov_b32_e32 v7, v9
	;; [unrolled: 1-line block ×3, first 2 shown]
	s_mov_b32 s11, 0
	s_inst_prefetch 0x1
	s_branch .LBB12_140
	.p2align	6
.LBB12_139:                             ;   in Loop: Header=BB12_140 Depth=2
	s_or_b32 exec_lo, exec_lo, s14
	v_add_nc_u32_e32 v3, 64, v3
	v_add_nc_u32_e32 v7, s8, v7
	;; [unrolled: 1-line block ×3, first 2 shown]
	v_cmp_le_i32_e32 vcc_lo, s28, v3
	s_or_b32 s11, vcc_lo, s11
	s_andn2_b32 exec_lo, exec_lo, s11
	s_cbranch_execz .LBB12_147
.LBB12_140:                             ;   Parent Loop BB12_137 Depth=1
                                        ; =>  This Loop Header: Depth=2
                                        ;       Child Loop BB12_143 Depth 3
	s_and_saveexec_b32 s14, s1
	s_cbranch_execz .LBB12_139
; %bb.141:                              ;   in Loop: Header=BB12_140 Depth=2
	v_mov_b32_e32 v12, v6
	v_mov_b32_e32 v13, v1
	s_mov_b32 s15, 0
	s_branch .LBB12_143
	.p2align	6
.LBB12_142:                             ;   in Loop: Header=BB12_143 Depth=3
	v_ashrrev_i32_e32 v5, 31, v4
	v_add_nc_u32_e32 v13, 1, v13
	v_lshlrev_b64 v[4:5], 3, v[4:5]
	v_add_co_u32 v4, vcc_lo, s12, v4
	v_add_co_ci_u32_e64 v5, null, s13, v5, vcc_lo
	v_cmp_le_i32_e32 vcc_lo, s28, v13
	global_load_dwordx2 v[4:5], v[4:5], off
	s_or_b32 s15, vcc_lo, s15
	s_waitcnt vmcnt(0)
	ds_write_b64 v12, v[4:5]
	v_add_nc_u32_e32 v12, 0x208, v12
	s_andn2_b32 exec_lo, exec_lo, s15
	s_cbranch_execz .LBB12_139
.LBB12_143:                             ;   Parent Loop BB12_137 Depth=1
                                        ;     Parent Loop BB12_140 Depth=2
                                        ; =>    This Inner Loop Header: Depth=3
	s_and_b32 vcc_lo, exec_lo, s4
	s_cbranch_vccz .LBB12_145
; %bb.144:                              ;   in Loop: Header=BB12_143 Depth=3
	v_add_nc_u32_e32 v4, s10, v13
	v_mad_u64_u32 v[4:5], null, v4, s28, v[3:4]
	s_cbranch_execnz .LBB12_142
	s_branch .LBB12_146
	.p2align	6
.LBB12_145:                             ;   in Loop: Header=BB12_143 Depth=3
                                        ; implicit-def: $vgpr4
.LBB12_146:                             ;   in Loop: Header=BB12_143 Depth=3
	v_add_nc_u32_e32 v4, v7, v13
	s_branch .LBB12_142
.LBB12_147:                             ;   in Loop: Header=BB12_137 Depth=1
	s_inst_prefetch 0x2
	s_or_b32 exec_lo, exec_lo, s2
	s_andn2_b32 vcc_lo, exec_lo, s6
	s_waitcnt lgkmcnt(0)
	buffer_gl0_inv
	s_cbranch_vccnz .LBB12_158
; %bb.148:                              ;   in Loop: Header=BB12_137 Depth=1
	v_mov_b32_e32 v5, v11
	v_mov_b32_e32 v6, v2
	s_mov_b32 s11, 0
	s_branch .LBB12_150
.LBB12_149:                             ;   in Loop: Header=BB12_150 Depth=2
	s_or_b32 exec_lo, exec_lo, s14
	v_add_nc_u32_e32 v6, s9, v6
	v_add_nc_u32_e32 v5, 8, v5
	s_add_i32 s11, s11, 1
	s_cmp_eq_u32 s11, s28
	s_cbranch_scc1 .LBB12_158
.LBB12_150:                             ;   Parent Loop BB12_137 Depth=1
                                        ; =>  This Loop Header: Depth=2
                                        ;       Child Loop BB12_153 Depth 3
                                        ;         Child Loop BB12_156 Depth 4
	s_and_saveexec_b32 s14, s0
	s_cbranch_execz .LBB12_149
; %bb.151:                              ;   in Loop: Header=BB12_150 Depth=2
	v_add_nc_u32_e32 v7, s11, v8
	v_mov_b32_e32 v12, v5
	v_mov_b32_e32 v13, v0
	s_add_i32 s15, s11, s5
	s_mov_b32 s16, 0
	v_cmp_gt_i32_e64 s2, s28, v7
	s_mul_i32 s15, s15, s28
	s_branch .LBB12_153
.LBB12_152:                             ;   in Loop: Header=BB12_153 Depth=3
	s_inst_prefetch 0x2
	s_or_b32 exec_lo, exec_lo, s17
	v_add_nc_u32_e32 v13, 64, v13
	v_add_nc_u32_e32 v12, 0x8200, v12
	v_cmp_le_i32_e32 vcc_lo, s28, v13
	s_or_b32 s16, vcc_lo, s16
	s_andn2_b32 exec_lo, exec_lo, s16
	s_cbranch_execz .LBB12_149
.LBB12_153:                             ;   Parent Loop BB12_137 Depth=1
                                        ;     Parent Loop BB12_150 Depth=2
                                        ; =>    This Loop Header: Depth=3
                                        ;         Child Loop BB12_156 Depth 4
	s_and_saveexec_b32 s17, s2
	s_cbranch_execz .LBB12_152
; %bb.154:                              ;   in Loop: Header=BB12_153 Depth=3
	v_mul_lo_u32 v3, 0x208, v13
	v_mov_b32_e32 v14, v12
	v_mov_b32_e32 v15, v6
	;; [unrolled: 1-line block ×3, first 2 shown]
	s_mov_b32 s25, 0
	v_lshl_add_u32 v16, s11, 3, v3
	s_inst_prefetch 0x1
	s_branch .LBB12_156
	.p2align	6
.LBB12_155:                             ;   in Loop: Header=BB12_156 Depth=4
	v_ashrrev_i32_e32 v4, 31, v3
	v_add_nc_u32_e32 v17, 1, v17
	v_add_nc_u32_e32 v15, s28, v15
	v_lshlrev_b64 v[3:4], 3, v[3:4]
	v_add_co_u32 v3, vcc_lo, s12, v3
	v_add_co_ci_u32_e64 v4, null, s13, v4, vcc_lo
	v_cmp_le_i32_e32 vcc_lo, s28, v17
	global_load_dwordx2 v[3:4], v[3:4], off
	ds_read_b64 v[18:19], v16
	ds_read_b64 v[20:21], v14
	s_or_b32 s25, vcc_lo, s25
	s_waitcnt vmcnt(0) lgkmcnt(0)
	v_fma_f64 v[3:4], -v[3:4], v[18:19], v[20:21]
	ds_write_b64 v14, v[3:4]
	v_add_nc_u32_e32 v14, 8, v14
	s_andn2_b32 exec_lo, exec_lo, s25
	s_cbranch_execz .LBB12_152
.LBB12_156:                             ;   Parent Loop BB12_137 Depth=1
                                        ;     Parent Loop BB12_150 Depth=2
                                        ;       Parent Loop BB12_153 Depth=3
                                        ; =>      This Inner Loop Header: Depth=4
	v_mov_b32_e32 v3, v15
	s_andn2_b32 vcc_lo, exec_lo, s4
	s_cbranch_vccnz .LBB12_155
; %bb.157:                              ;   in Loop: Header=BB12_156 Depth=4
	v_add_nc_u32_e32 v3, s15, v17
	s_branch .LBB12_155
.LBB12_158:                             ;   in Loop: Header=BB12_137 Depth=1
	s_waitcnt lgkmcnt(0)
	buffer_gl0_inv
	s_and_saveexec_b32 s11, s0
	s_cbranch_execz .LBB12_168
; %bb.159:                              ;   in Loop: Header=BB12_137 Depth=1
	v_mov_b32_e32 v12, v10
	v_mov_b32_e32 v13, v9
	;; [unrolled: 1-line block ×3, first 2 shown]
	s_mov_b32 s14, 0
	s_inst_prefetch 0x1
	s_branch .LBB12_161
	.p2align	6
.LBB12_160:                             ;   in Loop: Header=BB12_161 Depth=2
	s_or_b32 exec_lo, exec_lo, s15
	v_add_nc_u32_e32 v3, 64, v3
	v_add_nc_u32_e32 v13, s8, v13
	;; [unrolled: 1-line block ×3, first 2 shown]
	v_cmp_le_i32_e32 vcc_lo, s28, v3
	s_or_b32 s14, vcc_lo, s14
	s_andn2_b32 exec_lo, exec_lo, s14
	s_cbranch_execz .LBB12_168
.LBB12_161:                             ;   Parent Loop BB12_137 Depth=1
                                        ; =>  This Loop Header: Depth=2
                                        ;       Child Loop BB12_164 Depth 3
	s_and_saveexec_b32 s15, s1
	s_cbranch_execz .LBB12_160
; %bb.162:                              ;   in Loop: Header=BB12_161 Depth=2
	v_mov_b32_e32 v14, v12
	v_mov_b32_e32 v15, v1
	s_mov_b32 s16, 0
	s_branch .LBB12_164
	.p2align	6
.LBB12_163:                             ;   in Loop: Header=BB12_164 Depth=3
	v_ashrrev_i32_e32 v7, 31, v6
	v_add_nc_u32_e32 v15, 1, v15
	v_add_nc_u32_e32 v14, 0x208, v14
	v_lshlrev_b64 v[6:7], 3, v[6:7]
	v_cmp_le_i32_e32 vcc_lo, s28, v15
	s_or_b32 s16, vcc_lo, s16
	v_add_co_u32 v6, s2, s12, v6
	v_add_co_ci_u32_e64 v7, null, s13, v7, s2
	s_waitcnt lgkmcnt(0)
	global_store_dwordx2 v[6:7], v[4:5], off
	s_andn2_b32 exec_lo, exec_lo, s16
	s_cbranch_execz .LBB12_160
.LBB12_164:                             ;   Parent Loop BB12_137 Depth=1
                                        ;     Parent Loop BB12_161 Depth=2
                                        ; =>    This Inner Loop Header: Depth=3
	ds_read_b64 v[4:5], v14
	s_and_b32 vcc_lo, exec_lo, s4
	s_cbranch_vccz .LBB12_166
; %bb.165:                              ;   in Loop: Header=BB12_164 Depth=3
	v_add_nc_u32_e32 v6, s10, v15
	s_waitcnt lgkmcnt(0)
	v_mad_u64_u32 v[6:7], null, v6, s28, v[3:4]
	s_cbranch_execnz .LBB12_163
	s_branch .LBB12_167
	.p2align	6
.LBB12_166:                             ;   in Loop: Header=BB12_164 Depth=3
                                        ; implicit-def: $vgpr6
.LBB12_167:                             ;   in Loop: Header=BB12_164 Depth=3
	v_add_nc_u32_e32 v6, v13, v15
	s_branch .LBB12_163
.LBB12_168:                             ;   in Loop: Header=BB12_137 Depth=1
	s_inst_prefetch 0x2
	s_or_b32 exec_lo, exec_lo, s11
; %bb.169:                              ;   in Loop: Header=BB12_137 Depth=1
	v_add_nc_u32_e32 v9, s7, v9
	s_add_i32 s3, s3, 1
	s_cmp_ge_i32 s3, s23
	s_cbranch_scc0 .LBB12_137
.LBB12_170:
	v_or_b32_e32 v0, v0, v1
	s_mov_b32 s0, exec_lo
	v_cmpx_eq_u32_e32 0, v0
	s_cbranch_execz .LBB12_174
; %bb.171:
	v_mov_b32_e32 v0, 0
	v_mov_b32_e32 v1, 1
	s_add_u32 s0, s20, s26
	s_addc_u32 s1, s21, s27
	s_andn2_b32 vcc_lo, exec_lo, s29
	s_waitcnt vmcnt(0)
	s_waitcnt_vscnt null, 0x0
	global_store_dword v0, v1, s[0:1]
	s_cbranch_vccnz .LBB12_174
; %bb.172:
	v_mbcnt_lo_u32_b32 v0, exec_lo, 0
	v_cmp_eq_u32_e32 vcc_lo, 0, v0
	s_and_b32 exec_lo, exec_lo, vcc_lo
	s_cbranch_execz .LBB12_174
; %bb.173:
	s_add_i32 s0, s22, s24
	v_mov_b32_e32 v0, 0
	v_mov_b32_e32 v1, s0
	global_atomic_smin v0, v1, s[18:19]
.LBB12_174:
	s_endpgm
	.section	.rodata,"a",@progbits
	.p2align	6, 0x0
	.amdhsa_kernel _ZN9rocsparseL13bsrilu0_33_64ILj64ELj64ELj64EdEEv20rocsparse_direction_iPKiS3_PT2_S3_iPiS3_S6_21rocsparse_index_base_imNS_24const_host_device_scalarIfEENS8_IdEENS8_IS4_EEb
		.amdhsa_group_segment_fixed_size 33280
		.amdhsa_private_segment_fixed_size 0
		.amdhsa_kernarg_size 116
		.amdhsa_user_sgpr_count 6
		.amdhsa_user_sgpr_private_segment_buffer 1
		.amdhsa_user_sgpr_dispatch_ptr 0
		.amdhsa_user_sgpr_queue_ptr 0
		.amdhsa_user_sgpr_kernarg_segment_ptr 1
		.amdhsa_user_sgpr_dispatch_id 0
		.amdhsa_user_sgpr_flat_scratch_init 0
		.amdhsa_user_sgpr_private_segment_size 0
		.amdhsa_wavefront_size32 1
		.amdhsa_uses_dynamic_stack 0
		.amdhsa_system_sgpr_private_segment_wavefront_offset 0
		.amdhsa_system_sgpr_workgroup_id_x 1
		.amdhsa_system_sgpr_workgroup_id_y 0
		.amdhsa_system_sgpr_workgroup_id_z 0
		.amdhsa_system_sgpr_workgroup_info 0
		.amdhsa_system_vgpr_workitem_id 1
		.amdhsa_next_free_vgpr 193
		.amdhsa_next_free_sgpr 48
		.amdhsa_reserve_vcc 1
		.amdhsa_reserve_flat_scratch 0
		.amdhsa_float_round_mode_32 0
		.amdhsa_float_round_mode_16_64 0
		.amdhsa_float_denorm_mode_32 3
		.amdhsa_float_denorm_mode_16_64 3
		.amdhsa_dx10_clamp 1
		.amdhsa_ieee_mode 1
		.amdhsa_fp16_overflow 0
		.amdhsa_workgroup_processor_mode 1
		.amdhsa_memory_ordered 1
		.amdhsa_forward_progress 1
		.amdhsa_shared_vgpr_count 0
		.amdhsa_exception_fp_ieee_invalid_op 0
		.amdhsa_exception_fp_denorm_src 0
		.amdhsa_exception_fp_ieee_div_zero 0
		.amdhsa_exception_fp_ieee_overflow 0
		.amdhsa_exception_fp_ieee_underflow 0
		.amdhsa_exception_fp_ieee_inexact 0
		.amdhsa_exception_int_div_zero 0
	.end_amdhsa_kernel
	.section	.text._ZN9rocsparseL13bsrilu0_33_64ILj64ELj64ELj64EdEEv20rocsparse_direction_iPKiS3_PT2_S3_iPiS3_S6_21rocsparse_index_base_imNS_24const_host_device_scalarIfEENS8_IdEENS8_IS4_EEb,"axG",@progbits,_ZN9rocsparseL13bsrilu0_33_64ILj64ELj64ELj64EdEEv20rocsparse_direction_iPKiS3_PT2_S3_iPiS3_S6_21rocsparse_index_base_imNS_24const_host_device_scalarIfEENS8_IdEENS8_IS4_EEb,comdat
.Lfunc_end12:
	.size	_ZN9rocsparseL13bsrilu0_33_64ILj64ELj64ELj64EdEEv20rocsparse_direction_iPKiS3_PT2_S3_iPiS3_S6_21rocsparse_index_base_imNS_24const_host_device_scalarIfEENS8_IdEENS8_IS4_EEb, .Lfunc_end12-_ZN9rocsparseL13bsrilu0_33_64ILj64ELj64ELj64EdEEv20rocsparse_direction_iPKiS3_PT2_S3_iPiS3_S6_21rocsparse_index_base_imNS_24const_host_device_scalarIfEENS8_IdEENS8_IS4_EEb
                                        ; -- End function
	.set _ZN9rocsparseL13bsrilu0_33_64ILj64ELj64ELj64EdEEv20rocsparse_direction_iPKiS3_PT2_S3_iPiS3_S6_21rocsparse_index_base_imNS_24const_host_device_scalarIfEENS8_IdEENS8_IS4_EEb.num_vgpr, 36
	.set _ZN9rocsparseL13bsrilu0_33_64ILj64ELj64ELj64EdEEv20rocsparse_direction_iPKiS3_PT2_S3_iPiS3_S6_21rocsparse_index_base_imNS_24const_host_device_scalarIfEENS8_IdEENS8_IS4_EEb.num_agpr, 0
	.set _ZN9rocsparseL13bsrilu0_33_64ILj64ELj64ELj64EdEEv20rocsparse_direction_iPKiS3_PT2_S3_iPiS3_S6_21rocsparse_index_base_imNS_24const_host_device_scalarIfEENS8_IdEENS8_IS4_EEb.numbered_sgpr, 48
	.set _ZN9rocsparseL13bsrilu0_33_64ILj64ELj64ELj64EdEEv20rocsparse_direction_iPKiS3_PT2_S3_iPiS3_S6_21rocsparse_index_base_imNS_24const_host_device_scalarIfEENS8_IdEENS8_IS4_EEb.num_named_barrier, 0
	.set _ZN9rocsparseL13bsrilu0_33_64ILj64ELj64ELj64EdEEv20rocsparse_direction_iPKiS3_PT2_S3_iPiS3_S6_21rocsparse_index_base_imNS_24const_host_device_scalarIfEENS8_IdEENS8_IS4_EEb.private_seg_size, 0
	.set _ZN9rocsparseL13bsrilu0_33_64ILj64ELj64ELj64EdEEv20rocsparse_direction_iPKiS3_PT2_S3_iPiS3_S6_21rocsparse_index_base_imNS_24const_host_device_scalarIfEENS8_IdEENS8_IS4_EEb.uses_vcc, 1
	.set _ZN9rocsparseL13bsrilu0_33_64ILj64ELj64ELj64EdEEv20rocsparse_direction_iPKiS3_PT2_S3_iPiS3_S6_21rocsparse_index_base_imNS_24const_host_device_scalarIfEENS8_IdEENS8_IS4_EEb.uses_flat_scratch, 0
	.set _ZN9rocsparseL13bsrilu0_33_64ILj64ELj64ELj64EdEEv20rocsparse_direction_iPKiS3_PT2_S3_iPiS3_S6_21rocsparse_index_base_imNS_24const_host_device_scalarIfEENS8_IdEENS8_IS4_EEb.has_dyn_sized_stack, 0
	.set _ZN9rocsparseL13bsrilu0_33_64ILj64ELj64ELj64EdEEv20rocsparse_direction_iPKiS3_PT2_S3_iPiS3_S6_21rocsparse_index_base_imNS_24const_host_device_scalarIfEENS8_IdEENS8_IS4_EEb.has_recursion, 0
	.set _ZN9rocsparseL13bsrilu0_33_64ILj64ELj64ELj64EdEEv20rocsparse_direction_iPKiS3_PT2_S3_iPiS3_S6_21rocsparse_index_base_imNS_24const_host_device_scalarIfEENS8_IdEENS8_IS4_EEb.has_indirect_call, 0
	.section	.AMDGPU.csdata,"",@progbits
; Kernel info:
; codeLenInByte = 5188
; TotalNumSgprs: 50
; NumVgprs: 36
; ScratchSize: 0
; MemoryBound: 0
; FloatMode: 240
; IeeeMode: 1
; LDSByteSize: 33280 bytes/workgroup (compile time only)
; SGPRBlocks: 0
; VGPRBlocks: 24
; NumSGPRsForWavesPerEU: 50
; NumVGPRsForWavesPerEU: 193
; Occupancy: 2
; WaveLimiterHint : 1
; COMPUTE_PGM_RSRC2:SCRATCH_EN: 0
; COMPUTE_PGM_RSRC2:USER_SGPR: 6
; COMPUTE_PGM_RSRC2:TRAP_HANDLER: 0
; COMPUTE_PGM_RSRC2:TGID_X_EN: 1
; COMPUTE_PGM_RSRC2:TGID_Y_EN: 0
; COMPUTE_PGM_RSRC2:TGID_Z_EN: 0
; COMPUTE_PGM_RSRC2:TIDIG_COMP_CNT: 1
	.section	.text._ZN9rocsparseL15bsrilu0_generalILj128ELj64ELb0EdEEv20rocsparse_direction_iPKiS3_PT2_S3_iPiS3_S6_21rocsparse_index_base_imNS_24const_host_device_scalarIfEENS8_IdEENS8_IS4_EEb,"axG",@progbits,_ZN9rocsparseL15bsrilu0_generalILj128ELj64ELb0EdEEv20rocsparse_direction_iPKiS3_PT2_S3_iPiS3_S6_21rocsparse_index_base_imNS_24const_host_device_scalarIfEENS8_IdEENS8_IS4_EEb,comdat
	.globl	_ZN9rocsparseL15bsrilu0_generalILj128ELj64ELb0EdEEv20rocsparse_direction_iPKiS3_PT2_S3_iPiS3_S6_21rocsparse_index_base_imNS_24const_host_device_scalarIfEENS8_IdEENS8_IS4_EEb ; -- Begin function _ZN9rocsparseL15bsrilu0_generalILj128ELj64ELb0EdEEv20rocsparse_direction_iPKiS3_PT2_S3_iPiS3_S6_21rocsparse_index_base_imNS_24const_host_device_scalarIfEENS8_IdEENS8_IS4_EEb
	.p2align	8
	.type	_ZN9rocsparseL15bsrilu0_generalILj128ELj64ELb0EdEEv20rocsparse_direction_iPKiS3_PT2_S3_iPiS3_S6_21rocsparse_index_base_imNS_24const_host_device_scalarIfEENS8_IdEENS8_IS4_EEb,@function
_ZN9rocsparseL15bsrilu0_generalILj128ELj64ELb0EdEEv20rocsparse_direction_iPKiS3_PT2_S3_iPiS3_S6_21rocsparse_index_base_imNS_24const_host_device_scalarIfEENS8_IdEENS8_IS4_EEb: ; @_ZN9rocsparseL15bsrilu0_generalILj128ELj64ELb0EdEEv20rocsparse_direction_iPKiS3_PT2_S3_iPiS3_S6_21rocsparse_index_base_imNS_24const_host_device_scalarIfEENS8_IdEENS8_IS4_EEb
; %bb.0:
	s_clause 0x2
	s_load_dword s0, s[4:5], 0x70
	s_load_dwordx2 s[24:25], s[4:5], 0x48
	s_load_dwordx8 s[16:23], s[4:5], 0x50
	s_waitcnt lgkmcnt(0)
	s_bitcmp1_b32 s0, 0
	s_cselect_b32 s0, -1, 0
	s_cmp_eq_u32 s25, 0
	s_cselect_b32 s2, -1, 0
	s_cmp_lg_u32 s25, 0
	s_cselect_b32 s25, -1, 0
	s_or_b32 s7, s2, s0
	s_xor_b32 s3, s7, -1
	s_and_b32 s0, s2, exec_lo
	s_cselect_b32 s1, 0, s21
	s_cselect_b32 s0, 0, s20
	s_and_b32 vcc_lo, exec_lo, s7
	s_cbranch_vccnz .LBB13_2
; %bb.1:
	s_load_dword s0, s[18:19], 0x0
	s_waitcnt lgkmcnt(0)
	v_mov_b32_e32 v27, s0
	s_mov_b64 s[0:1], s[20:21]
	s_branch .LBB13_3
.LBB13_2:
	v_cndmask_b32_e64 v27, s18, 0, s2
.LBB13_3:
	v_mov_b32_e32 v9, s1
	v_cndmask_b32_e64 v1, 0, 1, s3
	v_mov_b32_e32 v8, s0
	s_andn2_b32 vcc_lo, exec_lo, s3
	s_cbranch_vccnz .LBB13_5
; %bb.4:
	v_mov_b32_e32 v2, s20
	v_mov_b32_e32 v3, s21
	flat_load_dwordx2 v[8:9], v[2:3]
.LBB13_5:
	s_and_b32 s0, s2, exec_lo
	s_cselect_b32 s1, 0, s23
	v_cmp_ne_u32_e32 vcc_lo, 1, v1
	s_cselect_b32 s0, 0, s22
	v_mov_b32_e32 v5, s1
	v_mov_b32_e32 v4, s0
	s_cbranch_vccnz .LBB13_7
; %bb.6:
	v_mov_b32_e32 v1, s22
	v_mov_b32_e32 v2, s23
	flat_load_dwordx2 v[4:5], v[1:2]
.LBB13_7:
	s_load_dwordx2 s[26:27], s[4:5], 0x0
	v_lshrrev_b32_e32 v1, 6, v0
	s_lshl_b32 s0, s6, 1
	v_and_or_b32 v1, 0x3fffffe, s0, v1
	s_mov_b32 s0, exec_lo
	s_waitcnt lgkmcnt(0)
	v_cmpx_gt_i32_e64 s27, v1
	s_cbranch_execz .LBB13_140
; %bb.8:
	s_clause 0x1
	s_load_dwordx4 s[20:23], s[4:5], 0x30
	s_load_dwordx2 s[6:7], s[4:5], 0x40
	v_lshlrev_b32_e32 v1, 2, v1
	s_load_dwordx8 s[8:15], s[4:5], 0x8
	v_and_b32_e32 v0, 63, v0
	s_mov_b32 s0, -1
	s_mov_b32 s19, exec_lo
	s_waitcnt lgkmcnt(0)
	global_load_dword v1, v1, s[22:23]
	s_waitcnt vmcnt(0)
	v_ashrrev_i32_e32 v2, 31, v1
	v_lshlrev_b64 v[2:3], 2, v[1:2]
	v_add_co_u32 v6, vcc_lo, s14, v2
	v_add_co_ci_u32_e64 v7, null, s15, v3, vcc_lo
	global_load_dword v6, v[6:7], off
	s_waitcnt vmcnt(0)
	v_cmpx_ne_u32_e32 -1, v6
	s_cbranch_execz .LBB13_134
; %bb.9:
	v_add_co_u32 v10, vcc_lo, s8, v2
	v_add_co_ci_u32_e64 v11, null, s9, v3, vcc_lo
	s_load_dword s18, s[4:5], 0x28
	s_mov_b32 s3, 0
	s_mov_b32 s5, exec_lo
	global_load_dwordx2 v[10:11], v[10:11], off
	s_waitcnt vmcnt(0)
	v_subrev_nc_u32_e32 v10, s24, v10
	v_subrev_nc_u32_e32 v26, s24, v11
	v_cmpx_lt_i32_e64 v10, v6
	s_cbranch_execz .LBB13_75
; %bb.10:
	v_add_nc_u32_e32 v12, v10, v0
	s_waitcnt lgkmcnt(0)
	v_mad_u64_u32 v[14:15], null, s18, v10, v[0:1]
	s_cmp_gt_i32 s18, 0
	v_cmp_gt_i32_e64 s0, s18, v0
	v_ashrrev_i32_e32 v13, 31, v12
	v_cmp_le_i32_e64 s1, s18, v0
	v_cmp_lt_i32_e64 s2, v12, v26
	s_cselect_b32 s22, -1, 0
	v_mul_lo_u32 v28, s18, v14
	v_lshlrev_b64 v[15:16], 2, v[12:13]
	s_cmp_lg_u32 s26, 0
	s_mov_b32 s28, 0
	s_cselect_b32 s23, -1, 0
	s_add_i32 s27, s27, 1
	s_mul_i32 s29, s18, s18
	v_add_co_u32 v13, vcc_lo, s10, v15
	v_add_co_ci_u32_e64 v14, null, s11, v16, vcc_lo
	v_add_nc_u32_e32 v29, 1, v28
	s_add_i32 s30, s18, 1
	s_lshl_b32 s31, s18, 6
	s_add_i32 s33, s18, -1
	s_mov_b32 s34, 0
                                        ; implicit-def: $sgpr35
                                        ; implicit-def: $sgpr36
	s_branch .LBB13_13
.LBB13_11:                              ;   in Loop: Header=BB13_13 Depth=1
	s_or_b32 exec_lo, exec_lo, s4
	s_andn2_b32 s4, s36, exec_lo
	s_and_b32 s28, s28, exec_lo
	s_or_b32 s36, s4, s28
.LBB13_12:                              ;   in Loop: Header=BB13_13 Depth=1
	s_or_b32 exec_lo, exec_lo, s37
	v_add_nc_u32_e32 v10, 1, v10
	s_xor_b32 s3, s3, -1
	v_add_nc_u32_e32 v29, s29, v29
	v_add_nc_u32_e32 v28, s29, v28
	s_mov_b32 s28, s36
	v_cmp_ge_i32_e32 vcc_lo, v10, v6
	s_or_b32 s3, s3, vcc_lo
	s_and_b32 s3, exec_lo, s3
	s_or_b32 s34, s3, s34
	s_andn2_b32 s3, s35, exec_lo
	s_and_b32 s4, s36, exec_lo
	s_or_b32 s35, s3, s4
	s_andn2_b32 exec_lo, exec_lo, s34
	s_cbranch_execz .LBB13_74
.LBB13_13:                              ; =>This Loop Header: Depth=1
                                        ;     Child Loop BB13_16 Depth 2
                                        ;     Child Loop BB13_21 Depth 2
                                        ;       Child Loop BB13_26 Depth 3
                                        ;         Child Loop BB13_35 Depth 4
                                        ;     Child Loop BB13_48 Depth 2
                                        ;       Child Loop BB13_53 Depth 3
                                        ;       Child Loop BB13_60 Depth 3
                                        ;         Child Loop BB13_62 Depth 4
                                        ;           Child Loop BB13_64 Depth 5
	v_ashrrev_i32_e32 v11, 31, v10
	s_or_b32 s36, s36, exec_lo
	v_lshlrev_b64 v[15:16], 2, v[10:11]
	v_add_co_u32 v15, vcc_lo, s10, v15
	v_add_co_ci_u32_e64 v16, null, s11, v16, vcc_lo
	s_waitcnt lgkmcnt(0)
	global_load_dword v7, v[15:16], off
	s_waitcnt vmcnt(0)
	v_subrev_nc_u32_e32 v15, s24, v7
	v_ashrrev_i32_e32 v16, 31, v15
	v_lshlrev_b64 v[15:16], 2, v[15:16]
	v_add_co_u32 v17, vcc_lo, s14, v15
	v_add_co_ci_u32_e64 v18, null, s15, v16, vcc_lo
	global_load_dword v31, v[17:18], off
	s_waitcnt vmcnt(0)
	v_cmp_ne_u32_e64 s3, -1, v31
	s_and_saveexec_b32 s37, s3
	s_cbranch_execz .LBB13_12
; %bb.14:                               ;   in Loop: Header=BB13_13 Depth=1
	v_add_co_u32 v17, vcc_lo, s8, v15
	v_add_co_ci_u32_e64 v18, null, s9, v16, vcc_lo
	v_add_co_u32 v15, vcc_lo, s20, v15
	v_add_co_ci_u32_e64 v16, null, s21, v16, vcc_lo
	global_load_dword v32, v[17:18], off offset:4
	global_load_dword v7, v[15:16], off glc dlc
	s_mov_b32 s4, exec_lo
	s_waitcnt vmcnt(0)
	v_cmpx_eq_u32_e32 0, v7
	s_cbranch_execz .LBB13_17
; %bb.15:                               ;   in Loop: Header=BB13_13 Depth=1
	s_mov_b32 s38, 0
.LBB13_16:                              ;   Parent Loop BB13_13 Depth=1
                                        ; =>  This Inner Loop Header: Depth=2
	global_load_dword v7, v[15:16], off glc dlc
	s_waitcnt vmcnt(0)
	v_cmp_ne_u32_e32 vcc_lo, 0, v7
	s_or_b32 s38, vcc_lo, s38
	s_andn2_b32 exec_lo, exec_lo, s38
	s_cbranch_execnz .LBB13_16
.LBB13_17:                              ;   in Loop: Header=BB13_13 Depth=1
	s_or_b32 exec_lo, exec_lo, s4
	v_mul_lo_u32 v30, v10, s18
	s_andn2_b32 vcc_lo, exec_lo, s22
	buffer_gl1_inv
	buffer_gl0_inv
	s_cbranch_vccnz .LBB13_44
; %bb.18:                               ;   in Loop: Header=BB13_13 Depth=1
	v_mul_lo_u32 v33, v31, s18
	v_mad_u64_u32 v[15:16], null, s29, v31, 1
	v_mov_b32_e32 v7, 0
	v_mov_b32_e32 v34, v29
	s_mov_b32 s38, 0
	s_mov_b32 s39, s33
	s_branch .LBB13_21
.LBB13_19:                              ;   in Loop: Header=BB13_21 Depth=2
	s_or_b32 exec_lo, exec_lo, s41
	v_mov_b32_e32 v7, v35
.LBB13_20:                              ;   in Loop: Header=BB13_21 Depth=2
	s_or_b32 exec_lo, exec_lo, s40
	v_cmp_eq_u32_e32 vcc_lo, s18, v7
	v_add_nc_u32_e32 v15, s30, v15
	v_add_nc_u32_e32 v34, 1, v34
	s_add_i32 s39, s39, -1
	s_or_b32 s38, vcc_lo, s38
	s_andn2_b32 exec_lo, exec_lo, s38
	s_cbranch_execz .LBB13_43
.LBB13_21:                              ;   Parent Loop BB13_13 Depth=1
                                        ; =>  This Loop Header: Depth=2
                                        ;       Child Loop BB13_26 Depth 3
                                        ;         Child Loop BB13_35 Depth 4
	v_add_nc_u32_e32 v35, 1, v7
	s_and_saveexec_b32 s4, s1
	s_xor_b32 s4, exec_lo, s4
; %bb.22:                               ;   in Loop: Header=BB13_21 Depth=2
	v_add_nc_u32_e32 v7, 1, v7
                                        ; implicit-def: $vgpr35
; %bb.23:                               ;   in Loop: Header=BB13_21 Depth=2
	s_andn2_saveexec_b32 s40, s4
	s_cbranch_execz .LBB13_20
; %bb.24:                               ;   in Loop: Header=BB13_21 Depth=2
	v_add_nc_u32_e32 v11, v7, v33
	v_cmp_gt_i32_e64 s4, s18, v35
	v_mov_b32_e32 v37, v34
	s_mov_b32 s41, 0
	v_mad_u64_u32 v[16:17], null, v11, s18, v[7:8]
	v_add_nc_u32_e32 v11, v7, v30
	v_mul_lo_u32 v36, v11, s18
	v_ashrrev_i32_e32 v17, 31, v16
	v_mov_b32_e32 v11, v0
	v_lshlrev_b64 v[16:17], 3, v[16:17]
	v_add_co_u32 v16, vcc_lo, s12, v16
	v_add_co_ci_u32_e64 v17, null, s13, v17, vcc_lo
	global_load_dwordx2 v[16:17], v[16:17], off
	s_branch .LBB13_26
.LBB13_25:                              ;   in Loop: Header=BB13_26 Depth=3
	s_or_b32 exec_lo, exec_lo, s42
	v_add_nc_u32_e32 v11, 64, v11
	v_add_nc_u32_e32 v37, s31, v37
	v_cmp_le_i32_e32 vcc_lo, s18, v11
	s_or_b32 s41, vcc_lo, s41
	s_andn2_b32 exec_lo, exec_lo, s41
	s_cbranch_execz .LBB13_19
.LBB13_26:                              ;   Parent Loop BB13_13 Depth=1
                                        ;     Parent Loop BB13_21 Depth=2
                                        ; =>    This Loop Header: Depth=3
                                        ;         Child Loop BB13_35 Depth 4
	v_add_nc_u32_e32 v20, v11, v36
	s_and_b32 vcc_lo, exec_lo, s23
	s_cbranch_vccz .LBB13_41
; %bb.27:                               ;   in Loop: Header=BB13_26 Depth=3
	v_add_nc_u32_e32 v18, v11, v36
	v_add_nc_u32_e32 v21, v11, v30
	s_cbranch_execnz .LBB13_29
.LBB13_28:                              ;   in Loop: Header=BB13_26 Depth=3
	v_mad_u64_u32 v[18:19], null, v21, s18, v[7:8]
.LBB13_29:                              ;   in Loop: Header=BB13_26 Depth=3
	v_ashrrev_i32_e32 v19, 31, v18
	v_lshlrev_b64 v[18:19], 3, v[18:19]
	v_add_co_u32 v18, vcc_lo, s12, v18
	v_add_co_ci_u32_e64 v19, null, s13, v19, vcc_lo
	s_and_b32 vcc_lo, exec_lo, s23
	global_load_dwordx2 v[18:19], v[18:19], off
	s_cbranch_vccz .LBB13_42
; %bb.30:                               ;   in Loop: Header=BB13_26 Depth=3
	s_cbranch_execnz .LBB13_32
.LBB13_31:                              ;   in Loop: Header=BB13_26 Depth=3
	v_mad_u64_u32 v[20:21], null, v21, s18, v[7:8]
.LBB13_32:                              ;   in Loop: Header=BB13_26 Depth=3
	s_waitcnt vmcnt(0)
	v_div_scale_f64 v[21:22], null, v[16:17], v[16:17], v[18:19]
	v_rcp_f64_e32 v[23:24], v[21:22]
	v_fma_f64 v[38:39], -v[21:22], v[23:24], 1.0
	v_fma_f64 v[23:24], v[23:24], v[38:39], v[23:24]
	v_fma_f64 v[38:39], -v[21:22], v[23:24], 1.0
	v_fma_f64 v[23:24], v[23:24], v[38:39], v[23:24]
	v_div_scale_f64 v[38:39], vcc_lo, v[18:19], v[16:17], v[18:19]
	v_mul_f64 v[40:41], v[38:39], v[23:24]
	v_fma_f64 v[21:22], -v[21:22], v[40:41], v[38:39]
	v_div_fmas_f64 v[21:22], v[21:22], v[23:24], v[40:41]
	v_div_fixup_f64 v[18:19], v[21:22], v[16:17], v[18:19]
	v_ashrrev_i32_e32 v21, 31, v20
	v_lshlrev_b64 v[20:21], 3, v[20:21]
	v_add_co_u32 v20, vcc_lo, s12, v20
	v_add_co_ci_u32_e64 v21, null, s13, v21, vcc_lo
	global_store_dwordx2 v[20:21], v[18:19], off
	s_and_saveexec_b32 s42, s4
	s_cbranch_execz .LBB13_25
; %bb.33:                               ;   in Loop: Header=BB13_26 Depth=3
	v_mov_b32_e32 v38, v37
	v_mov_b32_e32 v39, v15
	;; [unrolled: 1-line block ×3, first 2 shown]
	s_mov_b32 s43, s39
	s_branch .LBB13_35
.LBB13_34:                              ;   in Loop: Header=BB13_35 Depth=4
	s_waitcnt vmcnt(0)
	v_fma_f64 v[20:21], -v[18:19], v[20:21], v[22:23]
	v_ashrrev_i32_e32 v25, 31, v24
	v_add_nc_u32_e32 v40, 1, v40
	v_add_nc_u32_e32 v39, 1, v39
	;; [unrolled: 1-line block ×3, first 2 shown]
	s_add_i32 s43, s43, -1
	v_lshlrev_b64 v[22:23], 3, v[24:25]
	s_cmp_eq_u32 s43, 0
	v_add_co_u32 v22, vcc_lo, s12, v22
	v_add_co_ci_u32_e64 v23, null, s13, v23, vcc_lo
	global_store_dwordx2 v[22:23], v[20:21], off
	s_cbranch_scc1 .LBB13_25
.LBB13_35:                              ;   Parent Loop BB13_13 Depth=1
                                        ;     Parent Loop BB13_21 Depth=2
                                        ;       Parent Loop BB13_26 Depth=3
                                        ; =>      This Inner Loop Header: Depth=4
	v_mov_b32_e32 v20, v39
	s_andn2_b32 vcc_lo, exec_lo, s23
	s_cbranch_vccnz .LBB13_37
; %bb.36:                               ;   in Loop: Header=BB13_35 Depth=4
	v_add_nc_u32_e32 v20, v40, v33
	v_mad_u64_u32 v[20:21], null, v20, s18, v[7:8]
.LBB13_37:                              ;   in Loop: Header=BB13_35 Depth=4
	v_ashrrev_i32_e32 v21, 31, v20
	v_add_nc_u32_e32 v25, v40, v30
	v_mov_b32_e32 v22, v38
	v_lshlrev_b64 v[20:21], 3, v[20:21]
	v_add_co_u32 v20, vcc_lo, s12, v20
	v_add_co_ci_u32_e64 v21, null, s13, v21, vcc_lo
	s_andn2_b32 vcc_lo, exec_lo, s23
	global_load_dwordx2 v[20:21], v[20:21], off
	s_cbranch_vccnz .LBB13_39
; %bb.38:                               ;   in Loop: Header=BB13_35 Depth=4
	v_mad_u64_u32 v[22:23], null, v25, s18, v[11:12]
.LBB13_39:                              ;   in Loop: Header=BB13_35 Depth=4
	v_ashrrev_i32_e32 v23, 31, v22
	v_mov_b32_e32 v24, v38
	v_lshlrev_b64 v[22:23], 3, v[22:23]
	v_add_co_u32 v22, vcc_lo, s12, v22
	v_add_co_ci_u32_e64 v23, null, s13, v23, vcc_lo
	s_andn2_b32 vcc_lo, exec_lo, s23
	global_load_dwordx2 v[22:23], v[22:23], off
	s_cbranch_vccnz .LBB13_34
; %bb.40:                               ;   in Loop: Header=BB13_35 Depth=4
	v_mad_u64_u32 v[24:25], null, v25, s18, v[11:12]
	s_branch .LBB13_34
.LBB13_41:                              ;   in Loop: Header=BB13_26 Depth=3
                                        ; implicit-def: $vgpr18
	v_add_nc_u32_e32 v21, v11, v30
	s_branch .LBB13_28
.LBB13_42:                              ;   in Loop: Header=BB13_26 Depth=3
                                        ; implicit-def: $vgpr20
	s_branch .LBB13_31
.LBB13_43:                              ;   in Loop: Header=BB13_13 Depth=1
	s_or_b32 exec_lo, exec_lo, s38
.LBB13_44:                              ;   in Loop: Header=BB13_13 Depth=1
	v_subrev_nc_u32_e32 v11, s24, v32
	v_add_nc_u32_e32 v15, 1, v31
	s_mov_b32 s4, exec_lo
	v_cmpx_lt_i32_e64 v15, v11
	s_cbranch_execz .LBB13_11
; %bb.45:                               ;   in Loop: Header=BB13_13 Depth=1
	v_mul_lo_u32 v22, s29, v15
	s_mov_b32 s38, 0
	s_branch .LBB13_48
.LBB13_46:                              ;   in Loop: Header=BB13_48 Depth=2
	s_or_b32 exec_lo, exec_lo, s39
.LBB13_47:                              ;   in Loop: Header=BB13_48 Depth=2
	v_add_nc_u32_e32 v15, 1, v15
	v_add_nc_u32_e32 v22, s29, v22
	v_cmp_ge_i32_e32 vcc_lo, v15, v11
	s_or_b32 s38, vcc_lo, s38
	s_andn2_b32 exec_lo, exec_lo, s38
	s_cbranch_execz .LBB13_11
.LBB13_48:                              ;   Parent Loop BB13_13 Depth=1
                                        ; =>  This Loop Header: Depth=2
                                        ;       Child Loop BB13_53 Depth 3
                                        ;       Child Loop BB13_60 Depth 3
                                        ;         Child Loop BB13_62 Depth 4
                                        ;           Child Loop BB13_64 Depth 5
	v_ashrrev_i32_e32 v16, 31, v15
	v_lshlrev_b64 v[16:17], 2, v[15:16]
	v_add_co_u32 v16, vcc_lo, s10, v16
	v_add_co_ci_u32_e64 v17, null, s11, v17, vcc_lo
	s_waitcnt lgkmcnt(0)
	global_load_dword v7, v[16:17], off
	v_mov_b32_e32 v17, s27
	s_and_saveexec_b32 s39, s2
	s_cbranch_execz .LBB13_50
; %bb.49:                               ;   in Loop: Header=BB13_48 Depth=2
	global_load_dword v16, v[13:14], off
	s_waitcnt vmcnt(0)
	v_subrev_nc_u32_e32 v17, s24, v16
.LBB13_50:                              ;   in Loop: Header=BB13_48 Depth=2
	s_or_b32 exec_lo, exec_lo, s39
	s_waitcnt vmcnt(0)
	v_subrev_nc_u32_e32 v7, s24, v7
	v_mov_b32_e32 v18, v12
	s_mov_b32 s39, exec_lo
	v_cmpx_lt_i32_e64 v17, v7
	s_cbranch_execz .LBB13_56
; %bb.51:                               ;   in Loop: Header=BB13_48 Depth=2
	v_mov_b32_e32 v16, v12
	s_mov_b32 s40, 0
	s_branch .LBB13_53
	.p2align	6
.LBB13_52:                              ;   in Loop: Header=BB13_53 Depth=3
	s_or_b32 exec_lo, exec_lo, s41
	v_cmp_ge_i32_e32 vcc_lo, v17, v7
	v_mov_b32_e32 v16, v18
	s_or_b32 s40, vcc_lo, s40
	s_andn2_b32 exec_lo, exec_lo, s40
	s_cbranch_execz .LBB13_55
.LBB13_53:                              ;   Parent Loop BB13_13 Depth=1
                                        ;     Parent Loop BB13_48 Depth=2
                                        ; =>    This Inner Loop Header: Depth=3
	v_add_nc_u32_e32 v18, 64, v16
	v_mov_b32_e32 v17, s27
	s_mov_b32 s41, exec_lo
	v_cmpx_lt_i32_e64 v18, v26
	s_cbranch_execz .LBB13_52
; %bb.54:                               ;   in Loop: Header=BB13_53 Depth=3
	v_ashrrev_i32_e32 v17, 31, v16
	v_lshlrev_b64 v[16:17], 2, v[16:17]
	v_add_co_u32 v16, vcc_lo, s10, v16
	v_add_co_ci_u32_e64 v17, null, s11, v17, vcc_lo
	global_load_dword v16, v[16:17], off offset:256
	s_waitcnt vmcnt(0)
	v_subrev_nc_u32_e32 v17, s24, v16
	s_branch .LBB13_52
.LBB13_55:                              ;   in Loop: Header=BB13_48 Depth=2
	s_or_b32 exec_lo, exec_lo, s40
.LBB13_56:                              ;   in Loop: Header=BB13_48 Depth=2
	s_or_b32 exec_lo, exec_lo, s39
	v_cmp_eq_u32_e32 vcc_lo, v17, v7
	s_cbranch_vccz .LBB13_47
; %bb.57:                               ;   in Loop: Header=BB13_48 Depth=2
	s_ff1_i32_b32 s39, vcc_lo
	s_lshl_b32 s39, s39, 2
	v_mov_b32_e32 v7, s39
	ds_bpermute_b32 v7, v7, v18
	s_and_saveexec_b32 s39, s0
	s_cbranch_execz .LBB13_46
; %bb.58:                               ;   in Loop: Header=BB13_48 Depth=2
	v_mul_lo_u32 v23, v15, s18
	s_waitcnt lgkmcnt(0)
	v_mul_lo_u32 v24, v7, s18
	v_mov_b32_e32 v25, v28
	v_mov_b32_e32 v7, v0
	s_mov_b32 s40, 0
	s_branch .LBB13_60
.LBB13_59:                              ;   in Loop: Header=BB13_60 Depth=3
	v_add_nc_u32_e32 v7, 64, v7
	v_add_nc_u32_e32 v25, s31, v25
	v_cmp_le_i32_e32 vcc_lo, s18, v7
	s_or_b32 s40, vcc_lo, s40
	s_andn2_b32 exec_lo, exec_lo, s40
	s_cbranch_execz .LBB13_46
.LBB13_60:                              ;   Parent Loop BB13_13 Depth=1
                                        ;     Parent Loop BB13_48 Depth=2
                                        ; =>    This Loop Header: Depth=3
                                        ;         Child Loop BB13_62 Depth 4
                                        ;           Child Loop BB13_64 Depth 5
	v_add_nc_u32_e32 v16, v7, v24
	v_mov_b32_e32 v32, v22
	s_mov_b32 s41, 0
	v_mul_lo_u32 v31, v16, s18
	s_branch .LBB13_62
.LBB13_61:                              ;   in Loop: Header=BB13_62 Depth=4
	v_ashrrev_i32_e32 v19, 31, v18
	v_add_nc_u32_e32 v32, 1, v32
	s_add_i32 s41, s41, 1
	s_cmp_eq_u32 s41, s18
	v_lshlrev_b64 v[18:19], 3, v[18:19]
	v_add_co_u32 v18, vcc_lo, s12, v18
	v_add_co_ci_u32_e64 v19, null, s13, v19, vcc_lo
	global_load_dwordx2 v[20:21], v[18:19], off
	s_waitcnt vmcnt(0)
	v_add_f64 v[16:17], v[20:21], -v[16:17]
	global_store_dwordx2 v[18:19], v[16:17], off
	s_cbranch_scc1 .LBB13_59
.LBB13_62:                              ;   Parent Loop BB13_13 Depth=1
                                        ;     Parent Loop BB13_48 Depth=2
                                        ;       Parent Loop BB13_60 Depth=3
                                        ; =>      This Loop Header: Depth=4
                                        ;           Child Loop BB13_64 Depth 5
	v_add_nc_u32_e32 v16, s41, v23
	v_mov_b32_e32 v34, v32
	s_mov_b32 s42, 0
	v_mul_lo_u32 v33, v16, s18
	v_mov_b32_e32 v16, 0
	v_mov_b32_e32 v17, 0
	s_inst_prefetch 0x1
	s_branch .LBB13_64
	.p2align	6
.LBB13_63:                              ;   in Loop: Header=BB13_64 Depth=5
	v_ashrrev_i32_e32 v21, 31, v20
	v_add_nc_u32_e32 v34, s18, v34
	s_add_i32 s42, s42, 1
	s_cmp_eq_u32 s18, s42
	v_lshlrev_b64 v[20:21], 3, v[20:21]
	v_add_co_u32 v20, vcc_lo, s12, v20
	v_add_co_ci_u32_e64 v21, null, s13, v21, vcc_lo
	global_load_dwordx2 v[20:21], v[20:21], off
	s_waitcnt vmcnt(0)
	v_fma_f64 v[16:17], v[18:19], v[20:21], v[16:17]
	s_cbranch_scc1 .LBB13_70
.LBB13_64:                              ;   Parent Loop BB13_13 Depth=1
                                        ;     Parent Loop BB13_48 Depth=2
                                        ;       Parent Loop BB13_60 Depth=3
                                        ;         Parent Loop BB13_62 Depth=4
                                        ; =>        This Inner Loop Header: Depth=5
	s_and_b32 vcc_lo, exec_lo, s23
	s_cbranch_vccz .LBB13_69
; %bb.65:                               ;   in Loop: Header=BB13_64 Depth=5
	v_add_nc_u32_e32 v18, s42, v30
	v_mad_u64_u32 v[18:19], null, v18, s18, v[7:8]
	s_cbranch_execnz .LBB13_67
.LBB13_66:                              ;   in Loop: Header=BB13_64 Depth=5
	v_add_nc_u32_e32 v18, s42, v25
.LBB13_67:                              ;   in Loop: Header=BB13_64 Depth=5
	v_ashrrev_i32_e32 v19, 31, v18
	v_mov_b32_e32 v20, v34
	v_lshlrev_b64 v[18:19], 3, v[18:19]
	v_add_co_u32 v18, vcc_lo, s12, v18
	v_add_co_ci_u32_e64 v19, null, s13, v19, vcc_lo
	s_andn2_b32 vcc_lo, exec_lo, s23
	global_load_dwordx2 v[18:19], v[18:19], off
	s_cbranch_vccnz .LBB13_63
; %bb.68:                               ;   in Loop: Header=BB13_64 Depth=5
	v_add_nc_u32_e32 v20, s42, v33
	s_branch .LBB13_63
.LBB13_69:                              ;   in Loop: Header=BB13_64 Depth=5
                                        ; implicit-def: $vgpr18
	s_branch .LBB13_66
.LBB13_70:                              ;   in Loop: Header=BB13_62 Depth=4
	s_inst_prefetch 0x2
	s_and_b32 vcc_lo, exec_lo, s23
	s_cbranch_vccz .LBB13_72
; %bb.71:                               ;   in Loop: Header=BB13_62 Depth=4
	v_add_nc_u32_e32 v18, s41, v24
	v_mad_u64_u32 v[18:19], null, v18, s18, v[7:8]
	s_cbranch_execnz .LBB13_61
	s_branch .LBB13_73
.LBB13_72:                              ;   in Loop: Header=BB13_62 Depth=4
                                        ; implicit-def: $vgpr18
.LBB13_73:                              ;   in Loop: Header=BB13_62 Depth=4
	v_add_nc_u32_e32 v18, s41, v31
	s_branch .LBB13_61
.LBB13_74:
	s_or_b32 exec_lo, exec_lo, s34
	s_and_b32 s3, s35, exec_lo
.LBB13_75:
	s_or_b32 exec_lo, exec_lo, s5
	s_waitcnt lgkmcnt(0)
	v_ashrrev_i32_e32 v7, 31, v6
	s_cmp_gt_i32 s18, 0
	s_mov_b32 s8, 0
	s_cselect_b32 s4, -1, 0
	v_lshlrev_b64 v[10:11], 2, v[6:7]
	v_add_co_u32 v10, vcc_lo, s10, v10
	v_add_co_ci_u32_e64 v11, null, s11, v11, vcc_lo
	global_load_dword v7, v[10:11], off
	s_waitcnt vmcnt(0)
	v_subrev_nc_u32_e32 v7, s24, v7
	v_cmp_eq_u32_e32 vcc_lo, v7, v1
	s_and_b32 s0, s4, vcc_lo
	s_and_saveexec_b32 s5, s0
	s_cbranch_execz .LBB13_109
; %bb.76:
	v_cvt_f64_f32_e32 v[13:14], v27
	v_mul_lo_u32 v23, v6, s18
	s_cmp_eq_u64 s[16:17], 8
	s_mul_i32 s1, s18, s18
	s_cselect_b32 vcc_lo, -1, 0
	s_cmp_lg_u32 s26, 0
	v_mad_u64_u32 v[10:11], null, v6, s1, 1
	s_cselect_b32 s9, -1, 0
	v_add_nc_u32_e32 v12, v23, v0
	s_add_i32 s2, s18, 1
	v_cmp_eq_u32_e64 s0, 0, v0
	v_mov_b32_e32 v7, 0
	s_lshl_b32 s10, s18, 6
	v_mad_u64_u32 v[11:12], null, s18, v12, s[2:3]
	s_add_i32 s11, s18, -1
	s_mov_b32 s15, s3
                                        ; implicit-def: $sgpr14
	v_cndmask_b32_e32 v9, v14, v9, vcc_lo
	v_cndmask_b32_e32 v8, v13, v8, vcc_lo
	s_branch .LBB13_78
.LBB13_77:                              ;   in Loop: Header=BB13_78 Depth=1
	s_or_b32 exec_lo, exec_lo, s1
	v_cmp_eq_u32_e32 vcc_lo, s18, v25
	s_add_i32 s11, s11, -1
	v_add_nc_u32_e32 v10, s2, v10
	v_add_nc_u32_e32 v11, s2, v11
	v_mov_b32_e32 v7, v25
	s_or_b32 s8, vcc_lo, s8
	s_andn2_b32 s1, s14, exec_lo
	s_and_b32 s14, s15, exec_lo
	s_or_b32 s14, s1, s14
	s_andn2_b32 exec_lo, exec_lo, s8
	s_cbranch_execz .LBB13_108
.LBB13_78:                              ; =>This Loop Header: Depth=1
                                        ;     Child Loop BB13_88 Depth 2
                                        ;       Child Loop BB13_97 Depth 3
	v_add_nc_u32_e32 v12, v7, v23
	s_mov_b32 s16, 0
	s_mov_b32 s1, 0
	s_mov_b32 s17, -1
                                        ; implicit-def: $vgpr14_vgpr15
	v_mul_lo_u32 v24, v12, s18
	v_add_nc_u32_e32 v12, v24, v7
	v_ashrrev_i32_e32 v13, 31, v12
	v_lshlrev_b64 v[12:13], 3, v[12:13]
	v_add_co_u32 v16, vcc_lo, s12, v12
	v_add_co_ci_u32_e64 v17, null, s13, v13, vcc_lo
	s_andn2_b32 vcc_lo, exec_lo, s25
	global_load_dwordx2 v[12:13], v[16:17], off
	s_cbranch_vccnz .LBB13_82
; %bb.79:                               ;   in Loop: Header=BB13_78 Depth=1
	s_waitcnt vmcnt(0)
	v_cmp_ge_f64_e64 vcc_lo, v[8:9], |v[12:13]|
	v_cndmask_b32_e32 v15, v13, v5, vcc_lo
	v_cndmask_b32_e32 v14, v12, v4, vcc_lo
	s_and_saveexec_b32 s1, s0
	s_cbranch_execz .LBB13_81
; %bb.80:                               ;   in Loop: Header=BB13_78 Depth=1
	global_store_dwordx2 v[16:17], v[14:15], off
.LBB13_81:                              ;   in Loop: Header=BB13_78 Depth=1
	s_or_b32 exec_lo, exec_lo, s1
	s_mov_b32 s17, 0
	s_mov_b32 s1, -1
.LBB13_82:                              ;   in Loop: Header=BB13_78 Depth=1
	s_andn2_b32 vcc_lo, exec_lo, s17
	s_cbranch_vccnz .LBB13_84
; %bb.83:                               ;   in Loop: Header=BB13_78 Depth=1
	s_waitcnt vmcnt(0)
	v_cmp_neq_f64_e32 vcc_lo, 0, v[12:13]
	s_andn2_b32 s1, s1, exec_lo
	s_mov_b32 s16, -1
	s_and_b32 s17, vcc_lo, exec_lo
	s_or_b32 s1, s1, s17
                                        ; implicit-def: $vgpr25
	s_and_saveexec_b32 s17, s1
	s_xor_b32 s17, exec_lo, s17
	s_cbranch_execnz .LBB13_85
	s_branch .LBB13_106
.LBB13_84:                              ;   in Loop: Header=BB13_78 Depth=1
	s_waitcnt vmcnt(0)
	v_mov_b32_e32 v12, v14
	v_mov_b32_e32 v13, v15
                                        ; implicit-def: $vgpr25
	s_and_saveexec_b32 s17, s1
	s_xor_b32 s17, exec_lo, s17
	s_cbranch_execz .LBB13_106
.LBB13_85:                              ;   in Loop: Header=BB13_78 Depth=1
	v_add_nc_u32_e32 v25, 1, v7
	s_mov_b32 s22, exec_lo
	v_add_nc_u32_e32 v14, v25, v0
	v_cmpx_gt_i32_e64 s18, v14
	s_cbranch_execz .LBB13_105
; %bb.86:                               ;   in Loop: Header=BB13_78 Depth=1
	v_cmp_gt_i32_e64 s1, s18, v25
	v_mov_b32_e32 v27, v11
	s_mov_b32 s23, 0
	s_branch .LBB13_88
.LBB13_87:                              ;   in Loop: Header=BB13_88 Depth=2
	s_or_b32 exec_lo, exec_lo, s27
	v_add_nc_u32_e32 v14, 64, v14
	v_add_nc_u32_e32 v27, s10, v27
	v_cmp_le_i32_e32 vcc_lo, s18, v14
	s_or_b32 s23, vcc_lo, s23
	s_andn2_b32 exec_lo, exec_lo, s23
	s_cbranch_execz .LBB13_105
.LBB13_88:                              ;   Parent Loop BB13_78 Depth=1
                                        ; =>  This Loop Header: Depth=2
                                        ;       Child Loop BB13_97 Depth 3
	v_add_nc_u32_e32 v17, v14, v24
	s_and_b32 vcc_lo, exec_lo, s9
	s_cbranch_vccz .LBB13_103
; %bb.89:                               ;   in Loop: Header=BB13_88 Depth=2
	v_add_nc_u32_e32 v15, v14, v24
	s_cbranch_execnz .LBB13_91
.LBB13_90:                              ;   in Loop: Header=BB13_88 Depth=2
	v_add_nc_u32_e32 v15, v14, v23
	v_mad_u64_u32 v[15:16], null, v15, s18, v[7:8]
.LBB13_91:                              ;   in Loop: Header=BB13_88 Depth=2
	v_ashrrev_i32_e32 v16, 31, v15
	v_lshlrev_b64 v[15:16], 3, v[15:16]
	v_add_co_u32 v15, vcc_lo, s12, v15
	v_add_co_ci_u32_e64 v16, null, s13, v16, vcc_lo
	s_and_b32 vcc_lo, exec_lo, s9
	global_load_dwordx2 v[15:16], v[15:16], off
	s_cbranch_vccz .LBB13_104
; %bb.92:                               ;   in Loop: Header=BB13_88 Depth=2
	s_cbranch_execnz .LBB13_94
.LBB13_93:                              ;   in Loop: Header=BB13_88 Depth=2
	v_add_nc_u32_e32 v17, v14, v23
	v_mad_u64_u32 v[17:18], null, v17, s18, v[7:8]
.LBB13_94:                              ;   in Loop: Header=BB13_88 Depth=2
	s_waitcnt vmcnt(0)
	v_div_scale_f64 v[18:19], null, v[12:13], v[12:13], v[15:16]
	v_rcp_f64_e32 v[20:21], v[18:19]
	v_fma_f64 v[28:29], -v[18:19], v[20:21], 1.0
	v_fma_f64 v[20:21], v[20:21], v[28:29], v[20:21]
	v_fma_f64 v[28:29], -v[18:19], v[20:21], 1.0
	v_fma_f64 v[20:21], v[20:21], v[28:29], v[20:21]
	v_div_scale_f64 v[28:29], vcc_lo, v[15:16], v[12:13], v[15:16]
	v_mul_f64 v[30:31], v[28:29], v[20:21]
	v_fma_f64 v[18:19], -v[18:19], v[30:31], v[28:29]
	v_div_fmas_f64 v[18:19], v[18:19], v[20:21], v[30:31]
	v_div_fixup_f64 v[15:16], v[18:19], v[12:13], v[15:16]
	v_ashrrev_i32_e32 v18, 31, v17
	v_lshlrev_b64 v[17:18], 3, v[17:18]
	v_add_co_u32 v17, vcc_lo, s12, v17
	v_add_co_ci_u32_e64 v18, null, s13, v18, vcc_lo
	global_store_dwordx2 v[17:18], v[15:16], off
	s_and_saveexec_b32 s27, s1
	s_cbranch_execz .LBB13_87
; %bb.95:                               ;   in Loop: Header=BB13_88 Depth=2
	v_mov_b32_e32 v28, v27
	v_mov_b32_e32 v29, v10
	;; [unrolled: 1-line block ×3, first 2 shown]
	s_mov_b32 s28, s11
	s_branch .LBB13_97
.LBB13_96:                              ;   in Loop: Header=BB13_97 Depth=3
	s_waitcnt vmcnt(0)
	v_fma_f64 v[17:18], -v[15:16], v[17:18], v[19:20]
	v_ashrrev_i32_e32 v22, 31, v21
	v_add_nc_u32_e32 v30, 1, v30
	v_add_nc_u32_e32 v29, 1, v29
	;; [unrolled: 1-line block ×3, first 2 shown]
	s_add_i32 s28, s28, -1
	v_lshlrev_b64 v[19:20], 3, v[21:22]
	s_cmp_eq_u32 s28, 0
	v_add_co_u32 v19, vcc_lo, s12, v19
	v_add_co_ci_u32_e64 v20, null, s13, v20, vcc_lo
	global_store_dwordx2 v[19:20], v[17:18], off
	s_cbranch_scc1 .LBB13_87
.LBB13_97:                              ;   Parent Loop BB13_78 Depth=1
                                        ;     Parent Loop BB13_88 Depth=2
                                        ; =>    This Inner Loop Header: Depth=3
	v_add_nc_u32_e32 v22, v30, v23
	v_mov_b32_e32 v17, v29
	s_andn2_b32 vcc_lo, exec_lo, s9
	s_cbranch_vccnz .LBB13_99
; %bb.98:                               ;   in Loop: Header=BB13_97 Depth=3
	v_mad_u64_u32 v[17:18], null, v22, s18, v[7:8]
.LBB13_99:                              ;   in Loop: Header=BB13_97 Depth=3
	v_ashrrev_i32_e32 v18, 31, v17
	v_mov_b32_e32 v19, v28
	v_lshlrev_b64 v[17:18], 3, v[17:18]
	v_add_co_u32 v17, vcc_lo, s12, v17
	v_add_co_ci_u32_e64 v18, null, s13, v18, vcc_lo
	s_andn2_b32 vcc_lo, exec_lo, s9
	global_load_dwordx2 v[17:18], v[17:18], off
	s_cbranch_vccnz .LBB13_101
; %bb.100:                              ;   in Loop: Header=BB13_97 Depth=3
	v_mad_u64_u32 v[19:20], null, v22, s18, v[14:15]
.LBB13_101:                             ;   in Loop: Header=BB13_97 Depth=3
	v_ashrrev_i32_e32 v20, 31, v19
	v_mov_b32_e32 v21, v28
	v_lshlrev_b64 v[19:20], 3, v[19:20]
	v_add_co_u32 v19, vcc_lo, s12, v19
	v_add_co_ci_u32_e64 v20, null, s13, v20, vcc_lo
	s_andn2_b32 vcc_lo, exec_lo, s9
	global_load_dwordx2 v[19:20], v[19:20], off
	s_cbranch_vccnz .LBB13_96
; %bb.102:                              ;   in Loop: Header=BB13_97 Depth=3
	v_mad_u64_u32 v[21:22], null, v22, s18, v[14:15]
	s_branch .LBB13_96
.LBB13_103:                             ;   in Loop: Header=BB13_88 Depth=2
                                        ; implicit-def: $vgpr15
	s_branch .LBB13_90
.LBB13_104:                             ;   in Loop: Header=BB13_88 Depth=2
                                        ; implicit-def: $vgpr17
	s_branch .LBB13_93
.LBB13_105:                             ;   in Loop: Header=BB13_78 Depth=1
	s_or_b32 exec_lo, exec_lo, s22
	s_andn2_b32 s16, s16, exec_lo
.LBB13_106:                             ;   in Loop: Header=BB13_78 Depth=1
	s_or_b32 exec_lo, exec_lo, s17
	s_andn2_b32 s1, s15, exec_lo
	s_and_b32 s15, s15, exec_lo
	s_or_b32 s15, s1, s15
	s_and_saveexec_b32 s1, s16
	s_cbranch_execz .LBB13_77
; %bb.107:                              ;   in Loop: Header=BB13_78 Depth=1
	v_add_nc_u32_e32 v25, 1, v7
	s_or_b32 s15, s15, exec_lo
	s_branch .LBB13_77
.LBB13_108:
	s_or_b32 exec_lo, exec_lo, s8
	s_andn2_b32 s0, s3, exec_lo
	s_and_b32 s1, s14, exec_lo
	s_or_b32 s3, s0, s1
.LBB13_109:
	s_or_b32 exec_lo, exec_lo, s5
	v_add_nc_u32_e32 v12, 1, v6
	s_mov_b32 s1, exec_lo
	v_cmpx_lt_i32_e64 v12, v26
	s_cbranch_execz .LBB13_133
; %bb.110:
	v_mul_lo_u32 v13, v6, s18
	s_mul_i32 s2, s18, s18
	v_cmp_gt_i32_e64 s0, s18, v0
	v_mul_lo_u32 v6, s2, v12
	s_cmp_lg_u32 s26, 0
	s_mov_b32 s5, 0
	s_cselect_b32 s8, -1, 0
	s_add_i32 s9, s18, 1
	v_mad_u64_u32 v[4:5], null, s18, v13, s[18:19]
	s_add_i32 s10, s18, -1
	v_add3_u32 v14, v6, s18, v0
	s_branch .LBB13_112
.LBB13_111:                             ;   in Loop: Header=BB13_112 Depth=1
	v_add_nc_u32_e32 v12, 1, v12
	v_add_nc_u32_e32 v14, s2, v14
	v_cmp_ge_i32_e32 vcc_lo, v12, v26
	s_or_b32 s5, vcc_lo, s5
	s_andn2_b32 exec_lo, exec_lo, s5
	s_cbranch_execz .LBB13_133
.LBB13_112:                             ; =>This Loop Header: Depth=1
                                        ;     Child Loop BB13_115 Depth 2
                                        ;       Child Loop BB13_118 Depth 3
                                        ;         Child Loop BB13_121 Depth 4
	s_andn2_b32 vcc_lo, exec_lo, s4
	s_cbranch_vccnz .LBB13_111
; %bb.113:                              ;   in Loop: Header=BB13_112 Depth=1
	v_mul_lo_u32 v15, v12, s18
	v_mov_b32_e32 v16, v14
	v_mov_b32_e32 v17, v4
	s_mov_b32 s14, 0
	s_mov_b32 s11, s10
	s_branch .LBB13_115
.LBB13_114:                             ;   in Loop: Header=BB13_115 Depth=2
	s_or_b32 exec_lo, exec_lo, s16
	v_add_nc_u32_e32 v17, s9, v17
	v_add_nc_u32_e32 v16, s18, v16
	s_add_i32 s11, s11, -1
	s_cmp_eq_u32 s15, s18
	s_mov_b32 s14, s15
	s_cbranch_scc1 .LBB13_111
.LBB13_115:                             ;   Parent Loop BB13_112 Depth=1
                                        ; =>  This Loop Header: Depth=2
                                        ;       Child Loop BB13_118 Depth 3
                                        ;         Child Loop BB13_121 Depth 4
	s_add_i32 s15, s14, 1
	s_and_saveexec_b32 s16, s0
	s_cbranch_execz .LBB13_114
; %bb.116:                              ;   in Loop: Header=BB13_115 Depth=2
	v_add_nc_u32_e32 v5, s14, v13
	v_add_nc_u32_e32 v6, s14, v15
	v_mov_b32_e32 v20, v16
	v_mov_b32_e32 v21, v0
	s_cmp_lt_i32 s15, s18
	v_mul_lo_u32 v18, v5, s18
	v_mul_lo_u32 v19, v6, s18
	s_cselect_b32 s17, -1, 0
	s_mov_b32 s22, 0
	s_branch .LBB13_118
.LBB13_117:                             ;   in Loop: Header=BB13_118 Depth=3
	v_add_nc_u32_e32 v21, 64, v21
	v_add_nc_u32_e32 v20, 64, v20
	v_cmp_le_i32_e32 vcc_lo, s18, v21
	s_or_b32 s22, vcc_lo, s22
	s_andn2_b32 exec_lo, exec_lo, s22
	s_cbranch_execz .LBB13_114
.LBB13_118:                             ;   Parent Loop BB13_112 Depth=1
                                        ;     Parent Loop BB13_115 Depth=2
                                        ; =>    This Loop Header: Depth=3
                                        ;         Child Loop BB13_121 Depth 4
	s_andn2_b32 vcc_lo, exec_lo, s17
	s_cbranch_vccnz .LBB13_117
; %bb.119:                              ;   in Loop: Header=BB13_118 Depth=3
	v_add_nc_u32_e32 v5, v21, v15
	v_add_nc_u32_e32 v24, v21, v19
	s_mov_b32 s23, 0
	s_mov_b32 s25, s11
	;; [unrolled: 1-line block ×3, first 2 shown]
	v_mul_lo_u32 v22, v5, s18
	v_add_nc_u32_e32 v23, s14, v22
	s_branch .LBB13_121
.LBB13_120:                             ;   in Loop: Header=BB13_121 Depth=4
	s_waitcnt vmcnt(0)
	v_fma_f64 v[5:6], -v[5:6], v[7:8], v[10:11]
	v_ashrrev_i32_e32 v10, 31, v9
	s_add_i32 s25, s25, -1
	s_add_i32 s26, s26, 1
	s_add_i32 s23, s23, s18
	s_cmp_eq_u32 s25, 0
	v_lshlrev_b64 v[7:8], 3, v[9:10]
	v_add_co_u32 v7, vcc_lo, s12, v7
	v_add_co_ci_u32_e64 v8, null, s13, v8, vcc_lo
	global_store_dwordx2 v[7:8], v[5:6], off
	s_cbranch_scc1 .LBB13_117
.LBB13_121:                             ;   Parent Loop BB13_112 Depth=1
                                        ;     Parent Loop BB13_115 Depth=2
                                        ;       Parent Loop BB13_118 Depth=3
                                        ; =>      This Inner Loop Header: Depth=4
	s_and_b32 vcc_lo, exec_lo, s8
	s_cbranch_vccz .LBB13_129
; %bb.122:                              ;   in Loop: Header=BB13_121 Depth=4
	v_add_nc_u32_e32 v5, s26, v18
	v_mov_b32_e32 v7, v23
	s_cbranch_execnz .LBB13_124
.LBB13_123:                             ;   in Loop: Header=BB13_121 Depth=4
	v_add_nc_u32_e32 v5, s23, v17
	v_mov_b32_e32 v7, v24
.LBB13_124:                             ;   in Loop: Header=BB13_121 Depth=4
	v_ashrrev_i32_e32 v6, 31, v5
	v_ashrrev_i32_e32 v8, 31, v7
	v_add_nc_u32_e32 v9, s26, v22
	v_lshlrev_b64 v[5:6], 3, v[5:6]
	v_lshlrev_b64 v[7:8], 3, v[7:8]
	v_add_co_u32 v5, vcc_lo, s12, v5
	v_add_co_ci_u32_e64 v6, null, s13, v6, vcc_lo
	v_add_co_u32 v7, vcc_lo, s12, v7
	v_add_co_ci_u32_e64 v8, null, s13, v8, vcc_lo
	s_clause 0x1
	global_load_dwordx2 v[5:6], v[5:6], off
	global_load_dwordx2 v[7:8], v[7:8], off
	s_and_b32 vcc_lo, exec_lo, s8
	s_cbranch_vccz .LBB13_130
; %bb.125:                              ;   in Loop: Header=BB13_121 Depth=4
	v_add_nc_u32_e32 v10, s26, v22
	v_add_nc_u32_e32 v25, s23, v20
	s_cbranch_execnz .LBB13_127
.LBB13_126:                             ;   in Loop: Header=BB13_121 Depth=4
	v_add_nc_u32_e32 v10, s23, v20
.LBB13_127:                             ;   in Loop: Header=BB13_121 Depth=4
	v_ashrrev_i32_e32 v11, 31, v10
	v_lshlrev_b64 v[10:11], 3, v[10:11]
	v_add_co_u32 v10, vcc_lo, s12, v10
	v_add_co_ci_u32_e64 v11, null, s13, v11, vcc_lo
	s_and_b32 vcc_lo, exec_lo, s8
	global_load_dwordx2 v[10:11], v[10:11], off
	s_cbranch_vccz .LBB13_131
; %bb.128:                              ;   in Loop: Header=BB13_121 Depth=4
	s_cbranch_execnz .LBB13_120
	s_branch .LBB13_132
.LBB13_129:                             ;   in Loop: Header=BB13_121 Depth=4
                                        ; implicit-def: $vgpr5
	v_mov_b32_e32 v7, v23
	s_branch .LBB13_123
.LBB13_130:                             ;   in Loop: Header=BB13_121 Depth=4
                                        ; implicit-def: $vgpr10
	v_add_nc_u32_e32 v25, s23, v20
	s_branch .LBB13_126
.LBB13_131:                             ;   in Loop: Header=BB13_121 Depth=4
                                        ; implicit-def: $vgpr9
.LBB13_132:                             ;   in Loop: Header=BB13_121 Depth=4
	v_mov_b32_e32 v9, v25
	s_branch .LBB13_120
.LBB13_133:
	s_or_b32 exec_lo, exec_lo, s1
	s_orn2_b32 s0, s3, exec_lo
.LBB13_134:
	s_or_b32 exec_lo, exec_lo, s19
	v_cmp_eq_u32_e32 vcc_lo, 0, v0
	s_and_b32 exec_lo, exec_lo, vcc_lo
	s_cbranch_execz .LBB13_140
; %bb.135:
	v_add_co_u32 v2, vcc_lo, s20, v2
	v_add_co_ci_u32_e64 v3, null, s21, v3, vcc_lo
	v_mov_b32_e32 v0, 1
	s_waitcnt_vscnt null, 0x0
	global_store_dword v[2:3], v0, off
	s_and_b32 exec_lo, exec_lo, s0
	s_cbranch_execz .LBB13_140
; %bb.136:
	v_add_nc_u32_e32 v0, s24, v1
	s_mov_b32 s1, exec_lo
	s_brev_b32 s0, -2
.LBB13_137:                             ; =>This Inner Loop Header: Depth=1
	s_ff1_i32_b32 s2, s1
	v_readlane_b32 s3, v0, s2
	s_lshl_b32 s2, 1, s2
	s_andn2_b32 s1, s1, s2
	s_min_i32 s0, s0, s3
	s_cmp_lg_u32 s1, 0
	s_cbranch_scc1 .LBB13_137
; %bb.138:
	v_mbcnt_lo_u32_b32 v0, exec_lo, 0
	s_mov_b32 s1, exec_lo
	v_cmpx_eq_u32_e32 0, v0
	s_xor_b32 s1, exec_lo, s1
	s_cbranch_execz .LBB13_140
; %bb.139:
	v_mov_b32_e32 v0, 0
	v_mov_b32_e32 v1, s0
	global_atomic_smin v0, v1, s[6:7]
.LBB13_140:
	s_endpgm
	.section	.rodata,"a",@progbits
	.p2align	6, 0x0
	.amdhsa_kernel _ZN9rocsparseL15bsrilu0_generalILj128ELj64ELb0EdEEv20rocsparse_direction_iPKiS3_PT2_S3_iPiS3_S6_21rocsparse_index_base_imNS_24const_host_device_scalarIfEENS8_IdEENS8_IS4_EEb
		.amdhsa_group_segment_fixed_size 0
		.amdhsa_private_segment_fixed_size 0
		.amdhsa_kernarg_size 116
		.amdhsa_user_sgpr_count 6
		.amdhsa_user_sgpr_private_segment_buffer 1
		.amdhsa_user_sgpr_dispatch_ptr 0
		.amdhsa_user_sgpr_queue_ptr 0
		.amdhsa_user_sgpr_kernarg_segment_ptr 1
		.amdhsa_user_sgpr_dispatch_id 0
		.amdhsa_user_sgpr_flat_scratch_init 0
		.amdhsa_user_sgpr_private_segment_size 0
		.amdhsa_wavefront_size32 1
		.amdhsa_uses_dynamic_stack 0
		.amdhsa_system_sgpr_private_segment_wavefront_offset 0
		.amdhsa_system_sgpr_workgroup_id_x 1
		.amdhsa_system_sgpr_workgroup_id_y 0
		.amdhsa_system_sgpr_workgroup_id_z 0
		.amdhsa_system_sgpr_workgroup_info 0
		.amdhsa_system_vgpr_workitem_id 0
		.amdhsa_next_free_vgpr 42
		.amdhsa_next_free_sgpr 44
		.amdhsa_reserve_vcc 1
		.amdhsa_reserve_flat_scratch 0
		.amdhsa_float_round_mode_32 0
		.amdhsa_float_round_mode_16_64 0
		.amdhsa_float_denorm_mode_32 3
		.amdhsa_float_denorm_mode_16_64 3
		.amdhsa_dx10_clamp 1
		.amdhsa_ieee_mode 1
		.amdhsa_fp16_overflow 0
		.amdhsa_workgroup_processor_mode 1
		.amdhsa_memory_ordered 1
		.amdhsa_forward_progress 1
		.amdhsa_shared_vgpr_count 0
		.amdhsa_exception_fp_ieee_invalid_op 0
		.amdhsa_exception_fp_denorm_src 0
		.amdhsa_exception_fp_ieee_div_zero 0
		.amdhsa_exception_fp_ieee_overflow 0
		.amdhsa_exception_fp_ieee_underflow 0
		.amdhsa_exception_fp_ieee_inexact 0
		.amdhsa_exception_int_div_zero 0
	.end_amdhsa_kernel
	.section	.text._ZN9rocsparseL15bsrilu0_generalILj128ELj64ELb0EdEEv20rocsparse_direction_iPKiS3_PT2_S3_iPiS3_S6_21rocsparse_index_base_imNS_24const_host_device_scalarIfEENS8_IdEENS8_IS4_EEb,"axG",@progbits,_ZN9rocsparseL15bsrilu0_generalILj128ELj64ELb0EdEEv20rocsparse_direction_iPKiS3_PT2_S3_iPiS3_S6_21rocsparse_index_base_imNS_24const_host_device_scalarIfEENS8_IdEENS8_IS4_EEb,comdat
.Lfunc_end13:
	.size	_ZN9rocsparseL15bsrilu0_generalILj128ELj64ELb0EdEEv20rocsparse_direction_iPKiS3_PT2_S3_iPiS3_S6_21rocsparse_index_base_imNS_24const_host_device_scalarIfEENS8_IdEENS8_IS4_EEb, .Lfunc_end13-_ZN9rocsparseL15bsrilu0_generalILj128ELj64ELb0EdEEv20rocsparse_direction_iPKiS3_PT2_S3_iPiS3_S6_21rocsparse_index_base_imNS_24const_host_device_scalarIfEENS8_IdEENS8_IS4_EEb
                                        ; -- End function
	.set _ZN9rocsparseL15bsrilu0_generalILj128ELj64ELb0EdEEv20rocsparse_direction_iPKiS3_PT2_S3_iPiS3_S6_21rocsparse_index_base_imNS_24const_host_device_scalarIfEENS8_IdEENS8_IS4_EEb.num_vgpr, 42
	.set _ZN9rocsparseL15bsrilu0_generalILj128ELj64ELb0EdEEv20rocsparse_direction_iPKiS3_PT2_S3_iPiS3_S6_21rocsparse_index_base_imNS_24const_host_device_scalarIfEENS8_IdEENS8_IS4_EEb.num_agpr, 0
	.set _ZN9rocsparseL15bsrilu0_generalILj128ELj64ELb0EdEEv20rocsparse_direction_iPKiS3_PT2_S3_iPiS3_S6_21rocsparse_index_base_imNS_24const_host_device_scalarIfEENS8_IdEENS8_IS4_EEb.numbered_sgpr, 44
	.set _ZN9rocsparseL15bsrilu0_generalILj128ELj64ELb0EdEEv20rocsparse_direction_iPKiS3_PT2_S3_iPiS3_S6_21rocsparse_index_base_imNS_24const_host_device_scalarIfEENS8_IdEENS8_IS4_EEb.num_named_barrier, 0
	.set _ZN9rocsparseL15bsrilu0_generalILj128ELj64ELb0EdEEv20rocsparse_direction_iPKiS3_PT2_S3_iPiS3_S6_21rocsparse_index_base_imNS_24const_host_device_scalarIfEENS8_IdEENS8_IS4_EEb.private_seg_size, 0
	.set _ZN9rocsparseL15bsrilu0_generalILj128ELj64ELb0EdEEv20rocsparse_direction_iPKiS3_PT2_S3_iPiS3_S6_21rocsparse_index_base_imNS_24const_host_device_scalarIfEENS8_IdEENS8_IS4_EEb.uses_vcc, 1
	.set _ZN9rocsparseL15bsrilu0_generalILj128ELj64ELb0EdEEv20rocsparse_direction_iPKiS3_PT2_S3_iPiS3_S6_21rocsparse_index_base_imNS_24const_host_device_scalarIfEENS8_IdEENS8_IS4_EEb.uses_flat_scratch, 0
	.set _ZN9rocsparseL15bsrilu0_generalILj128ELj64ELb0EdEEv20rocsparse_direction_iPKiS3_PT2_S3_iPiS3_S6_21rocsparse_index_base_imNS_24const_host_device_scalarIfEENS8_IdEENS8_IS4_EEb.has_dyn_sized_stack, 0
	.set _ZN9rocsparseL15bsrilu0_generalILj128ELj64ELb0EdEEv20rocsparse_direction_iPKiS3_PT2_S3_iPiS3_S6_21rocsparse_index_base_imNS_24const_host_device_scalarIfEENS8_IdEENS8_IS4_EEb.has_recursion, 0
	.set _ZN9rocsparseL15bsrilu0_generalILj128ELj64ELb0EdEEv20rocsparse_direction_iPKiS3_PT2_S3_iPiS3_S6_21rocsparse_index_base_imNS_24const_host_device_scalarIfEENS8_IdEENS8_IS4_EEb.has_indirect_call, 0
	.section	.AMDGPU.csdata,"",@progbits
; Kernel info:
; codeLenInByte = 4056
; TotalNumSgprs: 46
; NumVgprs: 42
; ScratchSize: 0
; MemoryBound: 0
; FloatMode: 240
; IeeeMode: 1
; LDSByteSize: 0 bytes/workgroup (compile time only)
; SGPRBlocks: 0
; VGPRBlocks: 5
; NumSGPRsForWavesPerEU: 46
; NumVGPRsForWavesPerEU: 42
; Occupancy: 16
; WaveLimiterHint : 1
; COMPUTE_PGM_RSRC2:SCRATCH_EN: 0
; COMPUTE_PGM_RSRC2:USER_SGPR: 6
; COMPUTE_PGM_RSRC2:TRAP_HANDLER: 0
; COMPUTE_PGM_RSRC2:TGID_X_EN: 1
; COMPUTE_PGM_RSRC2:TGID_Y_EN: 0
; COMPUTE_PGM_RSRC2:TGID_Z_EN: 0
; COMPUTE_PGM_RSRC2:TIDIG_COMP_CNT: 0
	.section	.text._ZN9rocsparseL15bsrilu0_generalILj128ELj64ELb1E21rocsparse_complex_numIfEEEv20rocsparse_direction_iPKiS5_PT2_S5_iPiS5_S8_21rocsparse_index_base_imNS_24const_host_device_scalarIfEENSA_IdEENSA_IS6_EEb,"axG",@progbits,_ZN9rocsparseL15bsrilu0_generalILj128ELj64ELb1E21rocsparse_complex_numIfEEEv20rocsparse_direction_iPKiS5_PT2_S5_iPiS5_S8_21rocsparse_index_base_imNS_24const_host_device_scalarIfEENSA_IdEENSA_IS6_EEb,comdat
	.globl	_ZN9rocsparseL15bsrilu0_generalILj128ELj64ELb1E21rocsparse_complex_numIfEEEv20rocsparse_direction_iPKiS5_PT2_S5_iPiS5_S8_21rocsparse_index_base_imNS_24const_host_device_scalarIfEENSA_IdEENSA_IS6_EEb ; -- Begin function _ZN9rocsparseL15bsrilu0_generalILj128ELj64ELb1E21rocsparse_complex_numIfEEEv20rocsparse_direction_iPKiS5_PT2_S5_iPiS5_S8_21rocsparse_index_base_imNS_24const_host_device_scalarIfEENSA_IdEENSA_IS6_EEb
	.p2align	8
	.type	_ZN9rocsparseL15bsrilu0_generalILj128ELj64ELb1E21rocsparse_complex_numIfEEEv20rocsparse_direction_iPKiS5_PT2_S5_iPiS5_S8_21rocsparse_index_base_imNS_24const_host_device_scalarIfEENSA_IdEENSA_IS6_EEb,@function
_ZN9rocsparseL15bsrilu0_generalILj128ELj64ELb1E21rocsparse_complex_numIfEEEv20rocsparse_direction_iPKiS5_PT2_S5_iPiS5_S8_21rocsparse_index_base_imNS_24const_host_device_scalarIfEENSA_IdEENSA_IS6_EEb: ; @_ZN9rocsparseL15bsrilu0_generalILj128ELj64ELb1E21rocsparse_complex_numIfEEEv20rocsparse_direction_iPKiS5_PT2_S5_iPiS5_S8_21rocsparse_index_base_imNS_24const_host_device_scalarIfEENSA_IdEENSA_IS6_EEb
; %bb.0:
	s_clause 0x2
	s_load_dword s0, s[4:5], 0x70
	s_load_dwordx2 s[24:25], s[4:5], 0x48
	s_load_dwordx8 s[16:23], s[4:5], 0x50
	s_waitcnt lgkmcnt(0)
	s_bitcmp1_b32 s0, 0
	s_cselect_b32 s2, -1, 0
	s_cmp_eq_u32 s25, 0
	s_cselect_b32 s8, -1, 0
	s_cmp_lg_u32 s25, 0
	s_cselect_b32 s3, -1, 0
	s_or_b32 s9, s8, s2
	s_xor_b32 s7, s9, -1
	s_and_b32 s0, s8, exec_lo
	s_cselect_b32 s1, 0, s21
	s_cselect_b32 s0, 0, s20
	s_and_b32 vcc_lo, exec_lo, s9
	s_cbranch_vccnz .LBB14_2
; %bb.1:
	s_load_dword s0, s[18:19], 0x0
	s_waitcnt lgkmcnt(0)
	v_mov_b32_e32 v26, s0
	s_mov_b64 s[0:1], s[20:21]
	v_mov_b32_e32 v7, s1
	v_mov_b32_e32 v6, s0
	s_andn2_b32 vcc_lo, exec_lo, s7
	s_cbranch_vccz .LBB14_3
	s_branch .LBB14_4
.LBB14_2:
	v_cndmask_b32_e64 v26, s18, 0, s8
	v_mov_b32_e32 v7, s1
	v_mov_b32_e32 v6, s0
	s_andn2_b32 vcc_lo, exec_lo, s7
	s_cbranch_vccnz .LBB14_4
.LBB14_3:
	v_mov_b32_e32 v1, s20
	v_mov_b32_e32 v2, s21
	flat_load_dwordx2 v[6:7], v[1:2]
.LBB14_4:
	v_cndmask_b32_e64 v25, 0, 1, s3
	s_mov_b32 s25, 0
	s_andn2_b32 vcc_lo, exec_lo, s3
	s_mov_b32 s28, s25
	s_cbranch_vccnz .LBB14_10
; %bb.5:
	s_xor_b32 s0, s2, -1
	s_mov_b32 s25, s22
	v_cndmask_b32_e64 v1, 0, 1, s0
	s_andn2_b32 vcc_lo, exec_lo, s0
	s_cbranch_vccnz .LBB14_7
; %bb.6:
	s_load_dword s25, s[22:23], 0x0
.LBB14_7:
	v_cmp_ne_u32_e32 vcc_lo, 1, v1
	s_cbranch_vccnz .LBB14_9
; %bb.8:
	s_load_dword s23, s[22:23], 0x4
.LBB14_9:
	s_waitcnt lgkmcnt(0)
	s_mov_b32 s28, s23
.LBB14_10:
	s_load_dwordx2 s[26:27], s[4:5], 0x0
	v_lshrrev_b32_e32 v1, 6, v0
	s_lshl_b32 s0, s6, 1
	v_and_or_b32 v1, 0x3fffffe, s0, v1
	s_mov_b32 s0, exec_lo
	s_waitcnt lgkmcnt(0)
	v_cmpx_gt_i32_e64 s27, v1
	s_cbranch_execz .LBB14_151
; %bb.11:
	s_clause 0x1
	s_load_dwordx4 s[20:23], s[4:5], 0x30
	s_load_dwordx2 s[6:7], s[4:5], 0x40
	v_lshlrev_b32_e32 v1, 2, v1
	s_load_dwordx8 s[8:15], s[4:5], 0x8
	v_and_b32_e32 v0, 63, v0
	s_mov_b32 s0, -1
	s_mov_b32 s19, exec_lo
	s_waitcnt lgkmcnt(0)
	global_load_dword v1, v1, s[22:23]
	s_waitcnt vmcnt(0)
	v_ashrrev_i32_e32 v2, 31, v1
	v_lshlrev_b64 v[2:3], 2, v[1:2]
	v_add_co_u32 v4, vcc_lo, s14, v2
	v_add_co_ci_u32_e64 v5, null, s15, v3, vcc_lo
	global_load_dword v4, v[4:5], off
	s_waitcnt vmcnt(0)
	v_cmpx_ne_u32_e32 -1, v4
	s_cbranch_execz .LBB14_145
; %bb.12:
	v_add_co_u32 v8, vcc_lo, s8, v2
	v_add_co_ci_u32_e64 v9, null, s9, v3, vcc_lo
	s_load_dword s18, s[4:5], 0x28
	s_mov_b32 s3, 0
	s_mov_b32 s5, exec_lo
	global_load_dwordx2 v[8:9], v[8:9], off
	s_waitcnt vmcnt(0)
	v_subrev_nc_u32_e32 v8, s24, v8
	v_subrev_nc_u32_e32 v24, s24, v9
	v_cmpx_lt_i32_e64 v8, v4
	s_cbranch_execz .LBB14_80
; %bb.13:
	v_add_nc_u32_e32 v10, v8, v0
	s_waitcnt lgkmcnt(0)
	v_mad_u64_u32 v[12:13], null, s18, v8, v[0:1]
	s_cmp_gt_i32 s18, 0
	v_cmp_gt_i32_e64 s0, s18, v0
	v_ashrrev_i32_e32 v11, 31, v10
	v_cmp_le_i32_e64 s1, s18, v0
	v_cmp_lt_i32_e64 s2, v10, v24
	s_cselect_b32 s22, -1, 0
	v_mul_lo_u32 v27, s18, v12
	v_lshlrev_b64 v[13:14], 2, v[10:11]
	s_cmp_lg_u32 s26, 0
	s_mov_b32 s29, 0
	s_cselect_b32 s23, -1, 0
	s_add_i32 s27, s27, 1
	s_mul_i32 s30, s18, s18
	v_add_co_u32 v11, vcc_lo, s10, v13
	v_add_co_ci_u32_e64 v12, null, s11, v14, vcc_lo
	v_add_nc_u32_e32 v28, 1, v27
	s_add_i32 s31, s18, 1
	s_lshl_b32 s33, s18, 6
	s_add_i32 s34, s18, -1
	s_mov_b32 s35, 0
                                        ; implicit-def: $sgpr36
                                        ; implicit-def: $sgpr37
	s_branch .LBB14_16
.LBB14_14:                              ;   in Loop: Header=BB14_16 Depth=1
	s_or_b32 exec_lo, exec_lo, s4
	s_andn2_b32 s4, s37, exec_lo
	s_and_b32 s29, s29, exec_lo
	s_or_b32 s37, s4, s29
.LBB14_15:                              ;   in Loop: Header=BB14_16 Depth=1
	s_or_b32 exec_lo, exec_lo, s38
	v_add_nc_u32_e32 v8, 1, v8
	s_xor_b32 s3, s3, -1
	v_add_nc_u32_e32 v28, s30, v28
	v_add_nc_u32_e32 v27, s30, v27
	s_mov_b32 s29, s37
	v_cmp_ge_i32_e32 vcc_lo, v8, v4
	s_or_b32 s3, s3, vcc_lo
	s_and_b32 s3, exec_lo, s3
	s_or_b32 s35, s3, s35
	s_andn2_b32 s3, s36, exec_lo
	s_and_b32 s4, s37, exec_lo
	s_or_b32 s36, s3, s4
	s_andn2_b32 exec_lo, exec_lo, s35
	s_cbranch_execz .LBB14_79
.LBB14_16:                              ; =>This Loop Header: Depth=1
                                        ;     Child Loop BB14_20 Depth 2
                                        ;       Child Loop BB14_21 Depth 3
                                        ;     Child Loop BB14_26 Depth 2
                                        ;       Child Loop BB14_31 Depth 3
                                        ;         Child Loop BB14_40 Depth 4
                                        ;     Child Loop BB14_53 Depth 2
                                        ;       Child Loop BB14_58 Depth 3
                                        ;       Child Loop BB14_65 Depth 3
                                        ;         Child Loop BB14_67 Depth 4
                                        ;           Child Loop BB14_69 Depth 5
	v_ashrrev_i32_e32 v9, 31, v8
	s_or_b32 s37, s37, exec_lo
	v_lshlrev_b64 v[13:14], 2, v[8:9]
	v_add_co_u32 v13, vcc_lo, s10, v13
	v_add_co_ci_u32_e64 v14, null, s11, v14, vcc_lo
	s_waitcnt lgkmcnt(0)
	global_load_dword v5, v[13:14], off
	s_waitcnt vmcnt(0)
	v_subrev_nc_u32_e32 v13, s24, v5
	v_ashrrev_i32_e32 v14, 31, v13
	v_lshlrev_b64 v[13:14], 2, v[13:14]
	v_add_co_u32 v15, vcc_lo, s14, v13
	v_add_co_ci_u32_e64 v16, null, s15, v14, vcc_lo
	global_load_dword v30, v[15:16], off
	s_waitcnt vmcnt(0)
	v_cmp_ne_u32_e64 s3, -1, v30
	s_and_saveexec_b32 s38, s3
	s_cbranch_execz .LBB14_15
; %bb.17:                               ;   in Loop: Header=BB14_16 Depth=1
	v_add_co_u32 v15, vcc_lo, s8, v13
	v_add_co_ci_u32_e64 v16, null, s9, v14, vcc_lo
	v_add_co_u32 v13, vcc_lo, s20, v13
	v_add_co_ci_u32_e64 v14, null, s21, v14, vcc_lo
	global_load_dword v31, v[15:16], off offset:4
	global_load_dword v5, v[13:14], off glc dlc
	s_mov_b32 s4, exec_lo
	s_waitcnt vmcnt(0)
	v_cmpx_eq_u32_e32 0, v5
	s_cbranch_execz .LBB14_22
; %bb.18:                               ;   in Loop: Header=BB14_16 Depth=1
	s_mov_b32 s39, 0
	s_mov_b32 s40, 0
	s_branch .LBB14_20
	.p2align	6
.LBB14_19:                              ;   in Loop: Header=BB14_20 Depth=2
	global_load_dword v5, v[13:14], off glc dlc
	s_cmpk_lt_u32 s40, 0xf43
	s_cselect_b32 s41, -1, 0
	s_cmp_lg_u32 s41, 0
	s_addc_u32 s40, s40, 0
	s_waitcnt vmcnt(0)
	v_cmp_ne_u32_e32 vcc_lo, 0, v5
	s_or_b32 s39, vcc_lo, s39
	s_andn2_b32 exec_lo, exec_lo, s39
	s_cbranch_execz .LBB14_22
.LBB14_20:                              ;   Parent Loop BB14_16 Depth=1
                                        ; =>  This Loop Header: Depth=2
                                        ;       Child Loop BB14_21 Depth 3
	s_cmp_eq_u32 s40, 0
	s_mov_b32 s41, s40
	s_cbranch_scc1 .LBB14_19
.LBB14_21:                              ;   Parent Loop BB14_16 Depth=1
                                        ;     Parent Loop BB14_20 Depth=2
                                        ; =>    This Inner Loop Header: Depth=3
	s_add_i32 s41, s41, -1
	s_sleep 1
	s_cmp_eq_u32 s41, 0
	s_cbranch_scc0 .LBB14_21
	s_branch .LBB14_19
.LBB14_22:                              ;   in Loop: Header=BB14_16 Depth=1
	s_or_b32 exec_lo, exec_lo, s4
	v_mul_lo_u32 v29, v8, s18
	s_andn2_b32 vcc_lo, exec_lo, s22
	buffer_gl1_inv
	buffer_gl0_inv
	s_cbranch_vccnz .LBB14_49
; %bb.23:                               ;   in Loop: Header=BB14_16 Depth=1
	v_mul_lo_u32 v32, v30, s18
	v_mad_u64_u32 v[13:14], null, s30, v30, 1
	v_mov_b32_e32 v5, 0
	v_mov_b32_e32 v33, v28
	s_mov_b32 s39, 0
	s_mov_b32 s40, s34
	s_branch .LBB14_26
.LBB14_24:                              ;   in Loop: Header=BB14_26 Depth=2
	s_or_b32 exec_lo, exec_lo, s42
	v_mov_b32_e32 v5, v34
.LBB14_25:                              ;   in Loop: Header=BB14_26 Depth=2
	s_or_b32 exec_lo, exec_lo, s41
	v_cmp_eq_u32_e32 vcc_lo, s18, v5
	v_add_nc_u32_e32 v13, s31, v13
	v_add_nc_u32_e32 v33, 1, v33
	s_add_i32 s40, s40, -1
	s_or_b32 s39, vcc_lo, s39
	s_andn2_b32 exec_lo, exec_lo, s39
	s_cbranch_execz .LBB14_48
.LBB14_26:                              ;   Parent Loop BB14_16 Depth=1
                                        ; =>  This Loop Header: Depth=2
                                        ;       Child Loop BB14_31 Depth 3
                                        ;         Child Loop BB14_40 Depth 4
	v_add_nc_u32_e32 v34, 1, v5
	s_and_saveexec_b32 s4, s1
	s_xor_b32 s4, exec_lo, s4
; %bb.27:                               ;   in Loop: Header=BB14_26 Depth=2
	v_add_nc_u32_e32 v5, 1, v5
                                        ; implicit-def: $vgpr34
; %bb.28:                               ;   in Loop: Header=BB14_26 Depth=2
	s_andn2_saveexec_b32 s41, s4
	s_cbranch_execz .LBB14_25
; %bb.29:                               ;   in Loop: Header=BB14_26 Depth=2
	v_add_nc_u32_e32 v9, v5, v32
	v_cmp_gt_i32_e64 s4, s18, v34
	v_mov_b32_e32 v36, v33
	s_mov_b32 s42, 0
	v_mad_u64_u32 v[14:15], null, v9, s18, v[5:6]
	v_ashrrev_i32_e32 v15, 31, v14
	v_lshlrev_b64 v[14:15], 3, v[14:15]
	v_add_co_u32 v14, vcc_lo, s12, v14
	v_add_co_ci_u32_e64 v15, null, s13, v15, vcc_lo
	global_load_dwordx2 v[14:15], v[14:15], off
	s_waitcnt vmcnt(0)
	v_mul_f32_e32 v9, v15, v15
	v_fmac_f32_e32 v9, v14, v14
	v_div_scale_f32 v16, null, v9, v9, 1.0
	v_div_scale_f32 v19, vcc_lo, 1.0, v9, 1.0
	v_rcp_f32_e32 v17, v16
	v_fma_f32 v18, -v16, v17, 1.0
	v_fmac_f32_e32 v17, v18, v17
	v_mul_f32_e32 v18, v19, v17
	v_fma_f32 v20, -v16, v18, v19
	v_fmac_f32_e32 v18, v20, v17
	v_fma_f32 v16, -v16, v18, v19
	v_add_nc_u32_e32 v19, v5, v29
	v_div_fmas_f32 v16, v16, v17, v18
	v_mul_lo_u32 v35, v19, s18
	v_div_fixup_f32 v37, v16, v9, 1.0
	v_mov_b32_e32 v9, v0
	s_branch .LBB14_31
.LBB14_30:                              ;   in Loop: Header=BB14_31 Depth=3
	s_or_b32 exec_lo, exec_lo, s43
	v_add_nc_u32_e32 v9, 64, v9
	v_add_nc_u32_e32 v36, s33, v36
	v_cmp_le_i32_e32 vcc_lo, s18, v9
	s_or_b32 s42, vcc_lo, s42
	s_andn2_b32 exec_lo, exec_lo, s42
	s_cbranch_execz .LBB14_24
.LBB14_31:                              ;   Parent Loop BB14_16 Depth=1
                                        ;     Parent Loop BB14_26 Depth=2
                                        ; =>    This Loop Header: Depth=3
                                        ;         Child Loop BB14_40 Depth 4
	v_add_nc_u32_e32 v16, v9, v35
	s_and_b32 vcc_lo, exec_lo, s23
	s_cbranch_vccz .LBB14_46
; %bb.32:                               ;   in Loop: Header=BB14_31 Depth=3
	v_add_nc_u32_e32 v17, v9, v35
	v_add_nc_u32_e32 v20, v9, v29
	s_cbranch_execnz .LBB14_34
.LBB14_33:                              ;   in Loop: Header=BB14_31 Depth=3
	v_mad_u64_u32 v[17:18], null, v20, s18, v[5:6]
.LBB14_34:                              ;   in Loop: Header=BB14_31 Depth=3
	v_ashrrev_i32_e32 v18, 31, v17
	v_lshlrev_b64 v[17:18], 3, v[17:18]
	v_add_co_u32 v17, vcc_lo, s12, v17
	v_add_co_ci_u32_e64 v18, null, s13, v18, vcc_lo
	s_and_b32 vcc_lo, exec_lo, s23
	global_load_dwordx2 v[18:19], v[17:18], off
	s_cbranch_vccz .LBB14_47
; %bb.35:                               ;   in Loop: Header=BB14_31 Depth=3
	s_cbranch_execnz .LBB14_37
.LBB14_36:                              ;   in Loop: Header=BB14_31 Depth=3
	v_mad_u64_u32 v[16:17], null, v20, s18, v[5:6]
.LBB14_37:                              ;   in Loop: Header=BB14_31 Depth=3
	s_waitcnt vmcnt(0)
	v_mul_f32_e32 v20, v15, v19
	v_mul_f32_e64 v21, v15, -v18
	v_ashrrev_i32_e32 v17, 31, v16
	v_fmac_f32_e32 v20, v18, v14
	v_fmac_f32_e32 v21, v19, v14
	v_lshlrev_b64 v[18:19], 3, v[16:17]
	v_mul_f32_e32 v16, v37, v20
	v_mul_f32_e32 v17, v37, v21
	v_add_co_u32 v18, vcc_lo, s12, v18
	v_add_co_ci_u32_e64 v19, null, s13, v19, vcc_lo
	global_store_dwordx2 v[18:19], v[16:17], off
	s_and_saveexec_b32 s43, s4
	s_cbranch_execz .LBB14_30
; %bb.38:                               ;   in Loop: Header=BB14_31 Depth=3
	v_mov_b32_e32 v38, v36
	v_mov_b32_e32 v39, v13
	;; [unrolled: 1-line block ×3, first 2 shown]
	s_mov_b32 s44, s40
	s_branch .LBB14_40
.LBB14_39:                              ;   in Loop: Header=BB14_40 Depth=4
	v_ashrrev_i32_e32 v23, 31, v22
	s_waitcnt vmcnt(0)
	v_fma_f32 v20, -v16, v18, v20
	v_fma_f32 v18, -v17, v18, v21
	v_add_nc_u32_e32 v40, 1, v40
	v_add_nc_u32_e32 v39, 1, v39
	v_lshlrev_b64 v[22:23], 3, v[22:23]
	v_fmac_f32_e32 v20, v17, v19
	v_fma_f32 v21, -v16, v19, v18
	v_add_nc_u32_e32 v38, 1, v38
	s_add_i32 s44, s44, -1
	s_cmp_eq_u32 s44, 0
	v_add_co_u32 v18, vcc_lo, s12, v22
	v_add_co_ci_u32_e64 v19, null, s13, v23, vcc_lo
	global_store_dwordx2 v[18:19], v[20:21], off
	s_cbranch_scc1 .LBB14_30
.LBB14_40:                              ;   Parent Loop BB14_16 Depth=1
                                        ;     Parent Loop BB14_26 Depth=2
                                        ;       Parent Loop BB14_31 Depth=3
                                        ; =>      This Inner Loop Header: Depth=4
	v_mov_b32_e32 v18, v39
	s_andn2_b32 vcc_lo, exec_lo, s23
	s_cbranch_vccnz .LBB14_42
; %bb.41:                               ;   in Loop: Header=BB14_40 Depth=4
	v_add_nc_u32_e32 v18, v40, v32
	v_mad_u64_u32 v[18:19], null, v18, s18, v[5:6]
.LBB14_42:                              ;   in Loop: Header=BB14_40 Depth=4
	v_ashrrev_i32_e32 v19, 31, v18
	v_add_nc_u32_e32 v23, v40, v29
	v_mov_b32_e32 v20, v38
	v_lshlrev_b64 v[18:19], 3, v[18:19]
	v_add_co_u32 v18, vcc_lo, s12, v18
	v_add_co_ci_u32_e64 v19, null, s13, v19, vcc_lo
	s_andn2_b32 vcc_lo, exec_lo, s23
	global_load_dwordx2 v[18:19], v[18:19], off
	s_cbranch_vccnz .LBB14_44
; %bb.43:                               ;   in Loop: Header=BB14_40 Depth=4
	v_mad_u64_u32 v[20:21], null, v23, s18, v[9:10]
.LBB14_44:                              ;   in Loop: Header=BB14_40 Depth=4
	v_ashrrev_i32_e32 v21, 31, v20
	v_mov_b32_e32 v22, v38
	v_lshlrev_b64 v[20:21], 3, v[20:21]
	v_add_co_u32 v20, vcc_lo, s12, v20
	v_add_co_ci_u32_e64 v21, null, s13, v21, vcc_lo
	s_andn2_b32 vcc_lo, exec_lo, s23
	global_load_dwordx2 v[20:21], v[20:21], off
	s_cbranch_vccnz .LBB14_39
; %bb.45:                               ;   in Loop: Header=BB14_40 Depth=4
	v_mad_u64_u32 v[22:23], null, v23, s18, v[9:10]
	s_branch .LBB14_39
.LBB14_46:                              ;   in Loop: Header=BB14_31 Depth=3
                                        ; implicit-def: $vgpr17
	v_add_nc_u32_e32 v20, v9, v29
	s_branch .LBB14_33
.LBB14_47:                              ;   in Loop: Header=BB14_31 Depth=3
                                        ; implicit-def: $vgpr16
	s_branch .LBB14_36
.LBB14_48:                              ;   in Loop: Header=BB14_16 Depth=1
	s_or_b32 exec_lo, exec_lo, s39
.LBB14_49:                              ;   in Loop: Header=BB14_16 Depth=1
	v_subrev_nc_u32_e32 v9, s24, v31
	v_add_nc_u32_e32 v13, 1, v30
	s_mov_b32 s4, exec_lo
	v_cmpx_lt_i32_e64 v13, v9
	s_cbranch_execz .LBB14_14
; %bb.50:                               ;   in Loop: Header=BB14_16 Depth=1
	v_mul_lo_u32 v18, s30, v13
	s_mov_b32 s39, 0
	s_branch .LBB14_53
.LBB14_51:                              ;   in Loop: Header=BB14_53 Depth=2
	s_or_b32 exec_lo, exec_lo, s40
.LBB14_52:                              ;   in Loop: Header=BB14_53 Depth=2
	v_add_nc_u32_e32 v13, 1, v13
	v_add_nc_u32_e32 v18, s30, v18
	v_cmp_ge_i32_e32 vcc_lo, v13, v9
	s_or_b32 s39, vcc_lo, s39
	s_andn2_b32 exec_lo, exec_lo, s39
	s_cbranch_execz .LBB14_14
.LBB14_53:                              ;   Parent Loop BB14_16 Depth=1
                                        ; =>  This Loop Header: Depth=2
                                        ;       Child Loop BB14_58 Depth 3
                                        ;       Child Loop BB14_65 Depth 3
                                        ;         Child Loop BB14_67 Depth 4
                                        ;           Child Loop BB14_69 Depth 5
	v_ashrrev_i32_e32 v14, 31, v13
	v_lshlrev_b64 v[14:15], 2, v[13:14]
	v_add_co_u32 v14, vcc_lo, s10, v14
	v_add_co_ci_u32_e64 v15, null, s11, v15, vcc_lo
	s_waitcnt lgkmcnt(0)
	global_load_dword v5, v[14:15], off
	v_mov_b32_e32 v15, s27
	s_and_saveexec_b32 s40, s2
	s_cbranch_execz .LBB14_55
; %bb.54:                               ;   in Loop: Header=BB14_53 Depth=2
	global_load_dword v14, v[11:12], off
	s_waitcnt vmcnt(0)
	v_subrev_nc_u32_e32 v15, s24, v14
.LBB14_55:                              ;   in Loop: Header=BB14_53 Depth=2
	s_or_b32 exec_lo, exec_lo, s40
	s_waitcnt vmcnt(0)
	v_subrev_nc_u32_e32 v5, s24, v5
	v_mov_b32_e32 v16, v10
	s_mov_b32 s40, exec_lo
	v_cmpx_lt_i32_e64 v15, v5
	s_cbranch_execz .LBB14_61
; %bb.56:                               ;   in Loop: Header=BB14_53 Depth=2
	v_mov_b32_e32 v14, v10
	s_mov_b32 s41, 0
	s_branch .LBB14_58
	.p2align	6
.LBB14_57:                              ;   in Loop: Header=BB14_58 Depth=3
	s_or_b32 exec_lo, exec_lo, s42
	v_cmp_ge_i32_e32 vcc_lo, v15, v5
	v_mov_b32_e32 v14, v16
	s_or_b32 s41, vcc_lo, s41
	s_andn2_b32 exec_lo, exec_lo, s41
	s_cbranch_execz .LBB14_60
.LBB14_58:                              ;   Parent Loop BB14_16 Depth=1
                                        ;     Parent Loop BB14_53 Depth=2
                                        ; =>    This Inner Loop Header: Depth=3
	v_add_nc_u32_e32 v16, 64, v14
	v_mov_b32_e32 v15, s27
	s_mov_b32 s42, exec_lo
	v_cmpx_lt_i32_e64 v16, v24
	s_cbranch_execz .LBB14_57
; %bb.59:                               ;   in Loop: Header=BB14_58 Depth=3
	v_ashrrev_i32_e32 v15, 31, v14
	v_lshlrev_b64 v[14:15], 2, v[14:15]
	v_add_co_u32 v14, vcc_lo, s10, v14
	v_add_co_ci_u32_e64 v15, null, s11, v15, vcc_lo
	global_load_dword v14, v[14:15], off offset:256
	s_waitcnt vmcnt(0)
	v_subrev_nc_u32_e32 v15, s24, v14
	s_branch .LBB14_57
.LBB14_60:                              ;   in Loop: Header=BB14_53 Depth=2
	s_or_b32 exec_lo, exec_lo, s41
.LBB14_61:                              ;   in Loop: Header=BB14_53 Depth=2
	s_or_b32 exec_lo, exec_lo, s40
	v_cmp_eq_u32_e32 vcc_lo, v15, v5
	s_cbranch_vccz .LBB14_52
; %bb.62:                               ;   in Loop: Header=BB14_53 Depth=2
	s_ff1_i32_b32 s40, vcc_lo
	s_lshl_b32 s40, s40, 2
	v_mov_b32_e32 v5, s40
	ds_bpermute_b32 v5, v5, v16
	s_and_saveexec_b32 s40, s0
	s_cbranch_execz .LBB14_51
; %bb.63:                               ;   in Loop: Header=BB14_53 Depth=2
	v_mul_lo_u32 v19, v13, s18
	s_waitcnt lgkmcnt(0)
	v_mul_lo_u32 v20, v5, s18
	v_mov_b32_e32 v21, v27
	v_mov_b32_e32 v5, v0
	s_mov_b32 s41, 0
	s_branch .LBB14_65
.LBB14_64:                              ;   in Loop: Header=BB14_65 Depth=3
	v_add_nc_u32_e32 v5, 64, v5
	v_add_nc_u32_e32 v21, s33, v21
	v_cmp_le_i32_e32 vcc_lo, s18, v5
	s_or_b32 s41, vcc_lo, s41
	s_andn2_b32 exec_lo, exec_lo, s41
	s_cbranch_execz .LBB14_51
.LBB14_65:                              ;   Parent Loop BB14_16 Depth=1
                                        ;     Parent Loop BB14_53 Depth=2
                                        ; =>    This Loop Header: Depth=3
                                        ;         Child Loop BB14_67 Depth 4
                                        ;           Child Loop BB14_69 Depth 5
	v_add_nc_u32_e32 v14, v5, v20
	v_mov_b32_e32 v23, v18
	s_mov_b32 s42, 0
	v_mul_lo_u32 v22, v14, s18
	s_branch .LBB14_67
.LBB14_66:                              ;   in Loop: Header=BB14_67 Depth=4
	v_ashrrev_i32_e32 v15, 31, v14
	v_add_nc_u32_e32 v23, 1, v23
	s_add_i32 s42, s42, 1
	s_cmp_eq_u32 s42, s18
	v_lshlrev_b64 v[14:15], 3, v[14:15]
	v_add_co_u32 v14, vcc_lo, s12, v14
	v_add_co_ci_u32_e64 v15, null, s13, v15, vcc_lo
	global_load_dwordx2 v[16:17], v[14:15], off
	s_waitcnt vmcnt(0)
	v_sub_f32_e32 v16, v16, v30
	v_sub_f32_e32 v17, v17, v31
	global_store_dwordx2 v[14:15], v[16:17], off
	s_cbranch_scc1 .LBB14_64
.LBB14_67:                              ;   Parent Loop BB14_16 Depth=1
                                        ;     Parent Loop BB14_53 Depth=2
                                        ;       Parent Loop BB14_65 Depth=3
                                        ; =>      This Loop Header: Depth=4
                                        ;           Child Loop BB14_69 Depth 5
	v_add_nc_u32_e32 v14, s42, v19
	v_mov_b32_e32 v30, 0
	v_mov_b32_e32 v33, v23
	;; [unrolled: 1-line block ×3, first 2 shown]
	s_mov_b32 s43, 0
	v_mul_lo_u32 v32, v14, s18
	s_inst_prefetch 0x1
	s_branch .LBB14_69
	.p2align	6
.LBB14_68:                              ;   in Loop: Header=BB14_69 Depth=5
	v_ashrrev_i32_e32 v17, 31, v16
	v_add_nc_u32_e32 v33, s18, v33
	s_add_i32 s43, s43, 1
	s_cmp_eq_u32 s18, s43
	v_lshlrev_b64 v[16:17], 3, v[16:17]
	v_add_co_u32 v16, vcc_lo, s12, v16
	v_add_co_ci_u32_e64 v17, null, s13, v17, vcc_lo
	global_load_dwordx2 v[16:17], v[16:17], off
	s_waitcnt vmcnt(0)
	v_fmac_f32_e32 v30, v14, v16
	v_fmac_f32_e32 v31, v15, v16
	v_fma_f32 v30, -v15, v17, v30
	v_fmac_f32_e32 v31, v14, v17
	s_cbranch_scc1 .LBB14_75
.LBB14_69:                              ;   Parent Loop BB14_16 Depth=1
                                        ;     Parent Loop BB14_53 Depth=2
                                        ;       Parent Loop BB14_65 Depth=3
                                        ;         Parent Loop BB14_67 Depth=4
                                        ; =>        This Inner Loop Header: Depth=5
	s_and_b32 vcc_lo, exec_lo, s23
	s_cbranch_vccz .LBB14_74
; %bb.70:                               ;   in Loop: Header=BB14_69 Depth=5
	v_add_nc_u32_e32 v14, s43, v29
	v_mad_u64_u32 v[14:15], null, v14, s18, v[5:6]
	s_cbranch_execnz .LBB14_72
.LBB14_71:                              ;   in Loop: Header=BB14_69 Depth=5
	v_add_nc_u32_e32 v14, s43, v21
.LBB14_72:                              ;   in Loop: Header=BB14_69 Depth=5
	v_ashrrev_i32_e32 v15, 31, v14
	v_mov_b32_e32 v16, v33
	v_lshlrev_b64 v[14:15], 3, v[14:15]
	v_add_co_u32 v14, vcc_lo, s12, v14
	v_add_co_ci_u32_e64 v15, null, s13, v15, vcc_lo
	s_andn2_b32 vcc_lo, exec_lo, s23
	global_load_dwordx2 v[14:15], v[14:15], off
	s_cbranch_vccnz .LBB14_68
; %bb.73:                               ;   in Loop: Header=BB14_69 Depth=5
	v_add_nc_u32_e32 v16, s43, v32
	s_branch .LBB14_68
.LBB14_74:                              ;   in Loop: Header=BB14_69 Depth=5
                                        ; implicit-def: $vgpr14
	s_branch .LBB14_71
.LBB14_75:                              ;   in Loop: Header=BB14_67 Depth=4
	s_inst_prefetch 0x2
	s_and_b32 vcc_lo, exec_lo, s23
	s_cbranch_vccz .LBB14_77
; %bb.76:                               ;   in Loop: Header=BB14_67 Depth=4
	v_add_nc_u32_e32 v14, s42, v20
	v_mad_u64_u32 v[14:15], null, v14, s18, v[5:6]
	s_cbranch_execnz .LBB14_66
	s_branch .LBB14_78
.LBB14_77:                              ;   in Loop: Header=BB14_67 Depth=4
                                        ; implicit-def: $vgpr14
.LBB14_78:                              ;   in Loop: Header=BB14_67 Depth=4
	v_add_nc_u32_e32 v14, s42, v22
	s_branch .LBB14_66
.LBB14_79:
	s_or_b32 exec_lo, exec_lo, s35
	s_and_b32 s3, s36, exec_lo
.LBB14_80:
	s_or_b32 exec_lo, exec_lo, s5
	s_waitcnt lgkmcnt(0)
	v_ashrrev_i32_e32 v5, 31, v4
	s_cmp_gt_i32 s18, 0
	s_mov_b32 s8, 0
	s_cselect_b32 s4, -1, 0
	v_lshlrev_b64 v[8:9], 2, v[4:5]
	v_add_co_u32 v8, vcc_lo, s10, v8
	v_add_co_ci_u32_e64 v9, null, s11, v9, vcc_lo
	global_load_dword v5, v[8:9], off
	s_waitcnt vmcnt(0)
	v_subrev_nc_u32_e32 v5, s24, v5
	v_cmp_eq_u32_e32 vcc_lo, v5, v1
	s_and_b32 s0, s4, vcc_lo
	s_and_saveexec_b32 s5, s0
	s_cbranch_execz .LBB14_120
; %bb.81:
	v_cvt_f64_f32_e32 v[11:12], v26
	v_mul_lo_u32 v21, v4, s18
	s_cmp_eq_u64 s[16:17], 8
	s_mul_i32 s1, s18, s18
	s_cselect_b32 vcc_lo, -1, 0
	s_cmp_lg_u32 s26, 0
	v_mad_u64_u32 v[8:9], null, v4, s1, 1
	s_cselect_b32 s9, -1, 0
	v_add_nc_u32_e32 v5, v21, v0
	s_add_i32 s2, s18, 1
	v_cmp_eq_u32_e64 s0, 0, v0
	s_lshl_b32 s10, s18, 6
	s_add_i32 s11, s18, -1
	v_mad_u64_u32 v[9:10], null, s18, v5, s[2:3]
	v_mov_b32_e32 v5, 0
	s_mov_b32 s15, s3
                                        ; implicit-def: $sgpr14
	v_cndmask_b32_e32 v7, v12, v7, vcc_lo
	v_cndmask_b32_e32 v6, v11, v6, vcc_lo
	s_branch .LBB14_83
.LBB14_82:                              ;   in Loop: Header=BB14_83 Depth=1
	s_or_b32 exec_lo, exec_lo, s1
	v_cmp_eq_u32_e32 vcc_lo, s18, v23
	s_add_i32 s11, s11, -1
	v_add_nc_u32_e32 v8, s2, v8
	v_add_nc_u32_e32 v9, s2, v9
	v_mov_b32_e32 v5, v23
	s_or_b32 s8, vcc_lo, s8
	s_andn2_b32 s1, s14, exec_lo
	s_and_b32 s14, s15, exec_lo
	s_or_b32 s14, s1, s14
	s_andn2_b32 exec_lo, exec_lo, s8
	s_cbranch_execz .LBB14_119
.LBB14_83:                              ; =>This Loop Header: Depth=1
                                        ;     Child Loop BB14_99 Depth 2
                                        ;       Child Loop BB14_108 Depth 3
	v_add_nc_u32_e32 v10, v5, v21
	s_mov_b32 s16, 0
	s_mov_b32 s17, 0
	s_mov_b32 s1, -1
                                        ; implicit-def: $vgpr14
	v_mul_lo_u32 v22, v10, s18
	v_add_nc_u32_e32 v10, v22, v5
	v_ashrrev_i32_e32 v11, 31, v10
	v_lshlrev_b64 v[10:11], 3, v[10:11]
	v_add_co_u32 v12, vcc_lo, s12, v10
	v_add_co_ci_u32_e64 v13, null, s13, v11, vcc_lo
	v_cmp_ne_u32_e32 vcc_lo, 1, v25
	global_load_dwordx2 v[10:11], v[12:13], off
	s_cbranch_vccnz .LBB14_93
; %bb.84:                               ;   in Loop: Header=BB14_83 Depth=1
	s_waitcnt vmcnt(0)
	v_cmp_gt_f32_e32 vcc_lo, 0, v10
                                        ; implicit-def: $vgpr16
	s_mov_b32 s1, exec_lo
	v_cndmask_b32_e64 v14, v10, -v10, vcc_lo
	v_cmp_gt_f32_e32 vcc_lo, 0, v11
	v_cndmask_b32_e64 v15, v11, -v11, vcc_lo
	v_cmpx_ngt_f32_e32 v14, v15
	s_xor_b32 s17, exec_lo, s1
	s_cbranch_execz .LBB14_88
; %bb.85:                               ;   in Loop: Header=BB14_83 Depth=1
	v_mov_b32_e32 v16, 0
	s_mov_b32 s22, exec_lo
	v_cmpx_neq_f32_e32 0, v11
	s_cbranch_execz .LBB14_87
; %bb.86:                               ;   in Loop: Header=BB14_83 Depth=1
	v_div_scale_f32 v16, null, v15, v15, v14
	v_div_scale_f32 v19, vcc_lo, v14, v15, v14
	v_rcp_f32_e32 v17, v16
	v_fma_f32 v18, -v16, v17, 1.0
	v_fmac_f32_e32 v17, v18, v17
	v_mul_f32_e32 v18, v19, v17
	v_fma_f32 v20, -v16, v18, v19
	v_fmac_f32_e32 v18, v20, v17
	v_fma_f32 v16, -v16, v18, v19
	v_div_fmas_f32 v16, v16, v17, v18
	v_div_fixup_f32 v14, v16, v15, v14
	v_fma_f32 v14, v14, v14, 1.0
	v_mul_f32_e32 v16, 0x4f800000, v14
	v_cmp_gt_f32_e32 vcc_lo, 0xf800000, v14
	v_cndmask_b32_e32 v14, v14, v16, vcc_lo
	v_sqrt_f32_e32 v16, v14
	v_add_nc_u32_e32 v17, -1, v16
	v_add_nc_u32_e32 v18, 1, v16
	v_fma_f32 v19, -v17, v16, v14
	v_fma_f32 v20, -v18, v16, v14
	v_cmp_ge_f32_e64 s1, 0, v19
	v_cndmask_b32_e64 v16, v16, v17, s1
	v_cmp_lt_f32_e64 s1, 0, v20
	v_cndmask_b32_e64 v16, v16, v18, s1
	v_mul_f32_e32 v17, 0x37800000, v16
	v_cndmask_b32_e32 v16, v16, v17, vcc_lo
	v_cmp_class_f32_e64 vcc_lo, v14, 0x260
	v_cndmask_b32_e32 v14, v16, v14, vcc_lo
	v_mul_f32_e32 v16, v15, v14
.LBB14_87:                              ;   in Loop: Header=BB14_83 Depth=1
	s_or_b32 exec_lo, exec_lo, s22
                                        ; implicit-def: $vgpr14
                                        ; implicit-def: $vgpr15
.LBB14_88:                              ;   in Loop: Header=BB14_83 Depth=1
	s_andn2_saveexec_b32 s17, s17
	s_cbranch_execz .LBB14_90
; %bb.89:                               ;   in Loop: Header=BB14_83 Depth=1
	v_div_scale_f32 v16, null, v14, v14, v15
	v_div_scale_f32 v19, vcc_lo, v15, v14, v15
	v_rcp_f32_e32 v17, v16
	v_fma_f32 v18, -v16, v17, 1.0
	v_fmac_f32_e32 v17, v18, v17
	v_mul_f32_e32 v18, v19, v17
	v_fma_f32 v20, -v16, v18, v19
	v_fmac_f32_e32 v18, v20, v17
	v_fma_f32 v16, -v16, v18, v19
	v_div_fmas_f32 v16, v16, v17, v18
	v_div_fixup_f32 v15, v16, v14, v15
	v_fma_f32 v15, v15, v15, 1.0
	v_mul_f32_e32 v16, 0x4f800000, v15
	v_cmp_gt_f32_e32 vcc_lo, 0xf800000, v15
	v_cndmask_b32_e32 v15, v15, v16, vcc_lo
	v_sqrt_f32_e32 v16, v15
	v_add_nc_u32_e32 v17, -1, v16
	v_add_nc_u32_e32 v18, 1, v16
	v_fma_f32 v19, -v17, v16, v15
	v_fma_f32 v20, -v18, v16, v15
	v_cmp_ge_f32_e64 s1, 0, v19
	v_cndmask_b32_e64 v16, v16, v17, s1
	v_cmp_lt_f32_e64 s1, 0, v20
	v_cndmask_b32_e64 v16, v16, v18, s1
	v_mul_f32_e32 v17, 0x37800000, v16
	v_cndmask_b32_e32 v16, v16, v17, vcc_lo
	v_cmp_class_f32_e64 vcc_lo, v15, 0x260
	v_cndmask_b32_e32 v15, v16, v15, vcc_lo
	v_mul_f32_e32 v16, v14, v15
.LBB14_90:                              ;   in Loop: Header=BB14_83 Depth=1
	s_or_b32 exec_lo, exec_lo, s17
	v_cvt_f64_f32_e32 v[14:15], v16
	v_cmp_ge_f64_e32 vcc_lo, v[6:7], v[14:15]
	v_cndmask_b32_e64 v15, v11, s28, vcc_lo
	v_cndmask_b32_e64 v14, v10, s25, vcc_lo
	s_and_saveexec_b32 s1, s0
	s_cbranch_execz .LBB14_92
; %bb.91:                               ;   in Loop: Header=BB14_83 Depth=1
	global_store_dwordx2 v[12:13], v[14:15], off
.LBB14_92:                              ;   in Loop: Header=BB14_83 Depth=1
	s_or_b32 exec_lo, exec_lo, s1
	s_mov_b32 s1, 0
	s_mov_b32 s17, -1
.LBB14_93:                              ;   in Loop: Header=BB14_83 Depth=1
	s_and_b32 vcc_lo, exec_lo, s1
	s_cbranch_vccz .LBB14_95
; %bb.94:                               ;   in Loop: Header=BB14_83 Depth=1
	s_waitcnt vmcnt(0)
	v_cmp_neq_f32_e32 vcc_lo, 0, v10
	v_cmp_neq_f32_e64 s1, 0, v11
	s_andn2_b32 s17, s17, exec_lo
	s_mov_b32 s16, -1
	s_or_b32 s1, vcc_lo, s1
	s_and_b32 s1, s1, exec_lo
	s_or_b32 s17, s17, s1
                                        ; implicit-def: $vgpr23
	s_and_saveexec_b32 s1, s17
	s_xor_b32 s17, exec_lo, s1
	s_cbranch_execnz .LBB14_96
	s_branch .LBB14_117
.LBB14_95:                              ;   in Loop: Header=BB14_83 Depth=1
	s_waitcnt vmcnt(0)
	v_mov_b32_e32 v10, v14
	v_mov_b32_e32 v11, v15
                                        ; implicit-def: $vgpr23
	s_and_saveexec_b32 s1, s17
	s_xor_b32 s17, exec_lo, s1
	s_cbranch_execz .LBB14_117
.LBB14_96:                              ;   in Loop: Header=BB14_83 Depth=1
	v_add_nc_u32_e32 v23, 1, v5
	s_mov_b32 s22, exec_lo
	v_add_nc_u32_e32 v12, v23, v0
	v_cmpx_gt_i32_e64 s18, v12
	s_cbranch_execz .LBB14_116
; %bb.97:                               ;   in Loop: Header=BB14_83 Depth=1
	v_mul_f32_e32 v13, v11, v11
	v_cmp_gt_i32_e64 s1, s18, v23
	v_mov_b32_e32 v27, v9
	s_mov_b32 s23, 0
	v_fmac_f32_e32 v13, v10, v10
	v_div_scale_f32 v14, null, v13, v13, 1.0
	v_div_scale_f32 v17, vcc_lo, 1.0, v13, 1.0
	v_rcp_f32_e32 v15, v14
	v_fma_f32 v16, -v14, v15, 1.0
	v_fmac_f32_e32 v15, v16, v15
	v_mul_f32_e32 v16, v17, v15
	v_fma_f32 v18, -v14, v16, v17
	v_fmac_f32_e32 v16, v18, v15
	v_fma_f32 v14, -v14, v16, v17
	v_div_fmas_f32 v14, v14, v15, v16
	v_div_fixup_f32 v26, v14, v13, 1.0
	s_branch .LBB14_99
.LBB14_98:                              ;   in Loop: Header=BB14_99 Depth=2
	s_or_b32 exec_lo, exec_lo, s27
	v_add_nc_u32_e32 v12, 64, v12
	v_add_nc_u32_e32 v27, s10, v27
	v_cmp_le_i32_e32 vcc_lo, s18, v12
	s_or_b32 s23, vcc_lo, s23
	s_andn2_b32 exec_lo, exec_lo, s23
	s_cbranch_execz .LBB14_116
.LBB14_99:                              ;   Parent Loop BB14_83 Depth=1
                                        ; =>  This Loop Header: Depth=2
                                        ;       Child Loop BB14_108 Depth 3
	v_add_nc_u32_e32 v13, v12, v22
	s_and_b32 vcc_lo, exec_lo, s9
	s_cbranch_vccz .LBB14_114
; %bb.100:                              ;   in Loop: Header=BB14_99 Depth=2
	v_add_nc_u32_e32 v14, v12, v22
	s_cbranch_execnz .LBB14_102
.LBB14_101:                             ;   in Loop: Header=BB14_99 Depth=2
	v_add_nc_u32_e32 v14, v12, v21
	v_mad_u64_u32 v[14:15], null, v14, s18, v[5:6]
.LBB14_102:                             ;   in Loop: Header=BB14_99 Depth=2
	v_ashrrev_i32_e32 v15, 31, v14
	v_lshlrev_b64 v[14:15], 3, v[14:15]
	v_add_co_u32 v14, vcc_lo, s12, v14
	v_add_co_ci_u32_e64 v15, null, s13, v15, vcc_lo
	s_and_b32 vcc_lo, exec_lo, s9
	global_load_dwordx2 v[15:16], v[14:15], off
	s_cbranch_vccz .LBB14_115
; %bb.103:                              ;   in Loop: Header=BB14_99 Depth=2
	s_cbranch_execnz .LBB14_105
.LBB14_104:                             ;   in Loop: Header=BB14_99 Depth=2
	v_add_nc_u32_e32 v13, v12, v21
	v_mad_u64_u32 v[13:14], null, v13, s18, v[5:6]
.LBB14_105:                             ;   in Loop: Header=BB14_99 Depth=2
	s_waitcnt vmcnt(0)
	v_mul_f32_e32 v17, v11, v16
	v_mul_f32_e64 v18, v11, -v15
	v_ashrrev_i32_e32 v14, 31, v13
	v_fmac_f32_e32 v17, v15, v10
	v_fmac_f32_e32 v18, v16, v10
	v_lshlrev_b64 v[15:16], 3, v[13:14]
	v_mul_f32_e32 v13, v26, v17
	v_mul_f32_e32 v14, v26, v18
	v_add_co_u32 v15, vcc_lo, s12, v15
	v_add_co_ci_u32_e64 v16, null, s13, v16, vcc_lo
	global_store_dwordx2 v[15:16], v[13:14], off
	s_and_saveexec_b32 s27, s1
	s_cbranch_execz .LBB14_98
; %bb.106:                              ;   in Loop: Header=BB14_99 Depth=2
	v_mov_b32_e32 v28, v27
	v_mov_b32_e32 v29, v8
	;; [unrolled: 1-line block ×3, first 2 shown]
	s_mov_b32 s29, s11
	s_branch .LBB14_108
.LBB14_107:                             ;   in Loop: Header=BB14_108 Depth=3
	v_ashrrev_i32_e32 v20, 31, v19
	s_waitcnt vmcnt(0)
	v_fma_f32 v17, -v13, v15, v17
	v_fma_f32 v15, -v14, v15, v18
	v_add_nc_u32_e32 v30, 1, v30
	v_add_nc_u32_e32 v29, 1, v29
	v_lshlrev_b64 v[19:20], 3, v[19:20]
	v_fmac_f32_e32 v17, v14, v16
	v_fma_f32 v18, -v13, v16, v15
	v_add_nc_u32_e32 v28, 1, v28
	s_add_i32 s29, s29, -1
	s_cmp_eq_u32 s29, 0
	v_add_co_u32 v15, vcc_lo, s12, v19
	v_add_co_ci_u32_e64 v16, null, s13, v20, vcc_lo
	global_store_dwordx2 v[15:16], v[17:18], off
	s_cbranch_scc1 .LBB14_98
.LBB14_108:                             ;   Parent Loop BB14_83 Depth=1
                                        ;     Parent Loop BB14_99 Depth=2
                                        ; =>    This Inner Loop Header: Depth=3
	v_add_nc_u32_e32 v20, v30, v21
	v_mov_b32_e32 v15, v29
	s_andn2_b32 vcc_lo, exec_lo, s9
	s_cbranch_vccnz .LBB14_110
; %bb.109:                              ;   in Loop: Header=BB14_108 Depth=3
	v_mad_u64_u32 v[15:16], null, v20, s18, v[5:6]
.LBB14_110:                             ;   in Loop: Header=BB14_108 Depth=3
	v_ashrrev_i32_e32 v16, 31, v15
	v_mov_b32_e32 v17, v28
	v_lshlrev_b64 v[15:16], 3, v[15:16]
	v_add_co_u32 v15, vcc_lo, s12, v15
	v_add_co_ci_u32_e64 v16, null, s13, v16, vcc_lo
	s_andn2_b32 vcc_lo, exec_lo, s9
	global_load_dwordx2 v[15:16], v[15:16], off
	s_cbranch_vccnz .LBB14_112
; %bb.111:                              ;   in Loop: Header=BB14_108 Depth=3
	v_mad_u64_u32 v[17:18], null, v20, s18, v[12:13]
.LBB14_112:                             ;   in Loop: Header=BB14_108 Depth=3
	v_ashrrev_i32_e32 v18, 31, v17
	v_mov_b32_e32 v19, v28
	v_lshlrev_b64 v[17:18], 3, v[17:18]
	v_add_co_u32 v17, vcc_lo, s12, v17
	v_add_co_ci_u32_e64 v18, null, s13, v18, vcc_lo
	s_andn2_b32 vcc_lo, exec_lo, s9
	global_load_dwordx2 v[17:18], v[17:18], off
	s_cbranch_vccnz .LBB14_107
; %bb.113:                              ;   in Loop: Header=BB14_108 Depth=3
	v_mad_u64_u32 v[19:20], null, v20, s18, v[12:13]
	s_branch .LBB14_107
.LBB14_114:                             ;   in Loop: Header=BB14_99 Depth=2
                                        ; implicit-def: $vgpr14
	s_branch .LBB14_101
.LBB14_115:                             ;   in Loop: Header=BB14_99 Depth=2
                                        ; implicit-def: $vgpr13
	s_branch .LBB14_104
.LBB14_116:                             ;   in Loop: Header=BB14_83 Depth=1
	s_or_b32 exec_lo, exec_lo, s22
	s_andn2_b32 s16, s16, exec_lo
.LBB14_117:                             ;   in Loop: Header=BB14_83 Depth=1
	s_or_b32 exec_lo, exec_lo, s17
	s_andn2_b32 s1, s15, exec_lo
	s_and_b32 s15, s15, exec_lo
	s_or_b32 s15, s1, s15
	s_and_saveexec_b32 s1, s16
	s_cbranch_execz .LBB14_82
; %bb.118:                              ;   in Loop: Header=BB14_83 Depth=1
	v_add_nc_u32_e32 v23, 1, v5
	s_or_b32 s15, s15, exec_lo
	s_branch .LBB14_82
.LBB14_119:
	s_or_b32 exec_lo, exec_lo, s8
	s_andn2_b32 s0, s3, exec_lo
	s_and_b32 s1, s14, exec_lo
	s_or_b32 s3, s0, s1
.LBB14_120:
	s_or_b32 exec_lo, exec_lo, s5
	v_add_nc_u32_e32 v13, 1, v4
	s_mov_b32 s1, exec_lo
	v_cmpx_lt_i32_e64 v13, v24
	s_cbranch_execz .LBB14_144
; %bb.121:
	v_mul_lo_u32 v14, v4, s18
	s_mul_i32 s2, s18, s18
	v_cmp_gt_i32_e64 s0, s18, v0
	v_mul_lo_u32 v6, s2, v13
	s_cmp_lg_u32 s26, 0
	s_mov_b32 s5, 0
	s_cselect_b32 s8, -1, 0
	s_add_i32 s9, s18, 1
	v_mad_u64_u32 v[4:5], null, s18, v14, s[18:19]
	s_add_i32 s10, s18, -1
	v_add3_u32 v15, v6, s18, v0
	s_branch .LBB14_123
.LBB14_122:                             ;   in Loop: Header=BB14_123 Depth=1
	v_add_nc_u32_e32 v13, 1, v13
	v_add_nc_u32_e32 v15, s2, v15
	v_cmp_ge_i32_e32 vcc_lo, v13, v24
	s_or_b32 s5, vcc_lo, s5
	s_andn2_b32 exec_lo, exec_lo, s5
	s_cbranch_execz .LBB14_144
.LBB14_123:                             ; =>This Loop Header: Depth=1
                                        ;     Child Loop BB14_126 Depth 2
                                        ;       Child Loop BB14_129 Depth 3
                                        ;         Child Loop BB14_132 Depth 4
	s_andn2_b32 vcc_lo, exec_lo, s4
	s_cbranch_vccnz .LBB14_122
; %bb.124:                              ;   in Loop: Header=BB14_123 Depth=1
	v_mul_lo_u32 v16, v13, s18
	v_mov_b32_e32 v17, v15
	v_mov_b32_e32 v18, v4
	s_mov_b32 s14, 0
	s_mov_b32 s11, s10
	s_branch .LBB14_126
.LBB14_125:                             ;   in Loop: Header=BB14_126 Depth=2
	s_or_b32 exec_lo, exec_lo, s16
	v_add_nc_u32_e32 v18, s9, v18
	v_add_nc_u32_e32 v17, s18, v17
	s_add_i32 s11, s11, -1
	s_cmp_eq_u32 s15, s18
	s_mov_b32 s14, s15
	s_cbranch_scc1 .LBB14_122
.LBB14_126:                             ;   Parent Loop BB14_123 Depth=1
                                        ; =>  This Loop Header: Depth=2
                                        ;       Child Loop BB14_129 Depth 3
                                        ;         Child Loop BB14_132 Depth 4
	s_add_i32 s15, s14, 1
	s_and_saveexec_b32 s16, s0
	s_cbranch_execz .LBB14_125
; %bb.127:                              ;   in Loop: Header=BB14_126 Depth=2
	v_add_nc_u32_e32 v5, s14, v14
	v_add_nc_u32_e32 v6, s14, v16
	v_mov_b32_e32 v21, v17
	v_mov_b32_e32 v22, v0
	s_cmp_lt_i32 s15, s18
	v_mul_lo_u32 v19, v5, s18
	v_mul_lo_u32 v20, v6, s18
	s_cselect_b32 s17, -1, 0
	s_mov_b32 s22, 0
	s_branch .LBB14_129
.LBB14_128:                             ;   in Loop: Header=BB14_129 Depth=3
	v_add_nc_u32_e32 v22, 64, v22
	v_add_nc_u32_e32 v21, 64, v21
	v_cmp_le_i32_e32 vcc_lo, s18, v22
	s_or_b32 s22, vcc_lo, s22
	s_andn2_b32 exec_lo, exec_lo, s22
	s_cbranch_execz .LBB14_125
.LBB14_129:                             ;   Parent Loop BB14_123 Depth=1
                                        ;     Parent Loop BB14_126 Depth=2
                                        ; =>    This Loop Header: Depth=3
                                        ;         Child Loop BB14_132 Depth 4
	s_andn2_b32 vcc_lo, exec_lo, s17
	s_cbranch_vccnz .LBB14_128
; %bb.130:                              ;   in Loop: Header=BB14_129 Depth=3
	v_add_nc_u32_e32 v5, v22, v16
	v_add_nc_u32_e32 v26, v22, v20
	s_mov_b32 s23, 0
	s_mov_b32 s25, s11
	;; [unrolled: 1-line block ×3, first 2 shown]
	v_mul_lo_u32 v23, v5, s18
	v_add_nc_u32_e32 v25, s14, v23
	s_branch .LBB14_132
.LBB14_131:                             ;   in Loop: Header=BB14_132 Depth=4
	v_ashrrev_i32_e32 v10, 31, v9
	s_waitcnt vmcnt(0)
	v_fma_f32 v11, -v5, v7, v11
	v_fma_f32 v7, -v6, v7, v12
	s_add_i32 s25, s25, -1
	s_add_i32 s26, s26, 1
	v_lshlrev_b64 v[9:10], 3, v[9:10]
	v_fmac_f32_e32 v11, v6, v8
	v_fma_f32 v12, -v5, v8, v7
	s_add_i32 s23, s23, s18
	s_cmp_eq_u32 s25, 0
	v_add_co_u32 v5, vcc_lo, s12, v9
	v_add_co_ci_u32_e64 v6, null, s13, v10, vcc_lo
	global_store_dwordx2 v[5:6], v[11:12], off
	s_cbranch_scc1 .LBB14_128
.LBB14_132:                             ;   Parent Loop BB14_123 Depth=1
                                        ;     Parent Loop BB14_126 Depth=2
                                        ;       Parent Loop BB14_129 Depth=3
                                        ; =>      This Inner Loop Header: Depth=4
	s_and_b32 vcc_lo, exec_lo, s8
	s_cbranch_vccz .LBB14_140
; %bb.133:                              ;   in Loop: Header=BB14_132 Depth=4
	v_add_nc_u32_e32 v5, s26, v19
	v_mov_b32_e32 v7, v25
	s_cbranch_execnz .LBB14_135
.LBB14_134:                             ;   in Loop: Header=BB14_132 Depth=4
	v_add_nc_u32_e32 v5, s23, v18
	v_mov_b32_e32 v7, v26
.LBB14_135:                             ;   in Loop: Header=BB14_132 Depth=4
	v_ashrrev_i32_e32 v6, 31, v5
	v_ashrrev_i32_e32 v8, 31, v7
	v_add_nc_u32_e32 v9, s26, v23
	v_lshlrev_b64 v[5:6], 3, v[5:6]
	v_lshlrev_b64 v[7:8], 3, v[7:8]
	v_add_co_u32 v5, vcc_lo, s12, v5
	v_add_co_ci_u32_e64 v6, null, s13, v6, vcc_lo
	v_add_co_u32 v7, vcc_lo, s12, v7
	v_add_co_ci_u32_e64 v8, null, s13, v8, vcc_lo
	s_clause 0x1
	global_load_dwordx2 v[5:6], v[5:6], off
	global_load_dwordx2 v[7:8], v[7:8], off
	s_and_b32 vcc_lo, exec_lo, s8
	s_cbranch_vccz .LBB14_141
; %bb.136:                              ;   in Loop: Header=BB14_132 Depth=4
	v_add_nc_u32_e32 v10, s26, v23
	v_add_nc_u32_e32 v27, s23, v21
	s_cbranch_execnz .LBB14_138
.LBB14_137:                             ;   in Loop: Header=BB14_132 Depth=4
	v_add_nc_u32_e32 v10, s23, v21
.LBB14_138:                             ;   in Loop: Header=BB14_132 Depth=4
	v_ashrrev_i32_e32 v11, 31, v10
	v_lshlrev_b64 v[10:11], 3, v[10:11]
	v_add_co_u32 v10, vcc_lo, s12, v10
	v_add_co_ci_u32_e64 v11, null, s13, v11, vcc_lo
	s_and_b32 vcc_lo, exec_lo, s8
	global_load_dwordx2 v[11:12], v[10:11], off
	s_cbranch_vccz .LBB14_142
; %bb.139:                              ;   in Loop: Header=BB14_132 Depth=4
	s_cbranch_execnz .LBB14_131
	s_branch .LBB14_143
.LBB14_140:                             ;   in Loop: Header=BB14_132 Depth=4
                                        ; implicit-def: $vgpr5
	v_mov_b32_e32 v7, v25
	s_branch .LBB14_134
.LBB14_141:                             ;   in Loop: Header=BB14_132 Depth=4
                                        ; implicit-def: $vgpr10
	v_add_nc_u32_e32 v27, s23, v21
	s_branch .LBB14_137
.LBB14_142:                             ;   in Loop: Header=BB14_132 Depth=4
                                        ; implicit-def: $vgpr9
.LBB14_143:                             ;   in Loop: Header=BB14_132 Depth=4
	v_mov_b32_e32 v9, v27
	s_branch .LBB14_131
.LBB14_144:
	s_or_b32 exec_lo, exec_lo, s1
	s_orn2_b32 s0, s3, exec_lo
.LBB14_145:
	s_or_b32 exec_lo, exec_lo, s19
	v_cmp_eq_u32_e32 vcc_lo, 0, v0
	s_and_b32 exec_lo, exec_lo, vcc_lo
	s_cbranch_execz .LBB14_151
; %bb.146:
	v_add_co_u32 v2, vcc_lo, s20, v2
	v_add_co_ci_u32_e64 v3, null, s21, v3, vcc_lo
	v_mov_b32_e32 v0, 1
	s_waitcnt_vscnt null, 0x0
	global_store_dword v[2:3], v0, off
	s_and_b32 exec_lo, exec_lo, s0
	s_cbranch_execz .LBB14_151
; %bb.147:
	v_add_nc_u32_e32 v0, s24, v1
	s_mov_b32 s1, exec_lo
	s_brev_b32 s0, -2
.LBB14_148:                             ; =>This Inner Loop Header: Depth=1
	s_ff1_i32_b32 s2, s1
	v_readlane_b32 s3, v0, s2
	s_lshl_b32 s2, 1, s2
	s_andn2_b32 s1, s1, s2
	s_min_i32 s0, s0, s3
	s_cmp_lg_u32 s1, 0
	s_cbranch_scc1 .LBB14_148
; %bb.149:
	v_mbcnt_lo_u32_b32 v0, exec_lo, 0
	s_mov_b32 s1, exec_lo
	v_cmpx_eq_u32_e32 0, v0
	s_xor_b32 s1, exec_lo, s1
	s_cbranch_execz .LBB14_151
; %bb.150:
	v_mov_b32_e32 v0, 0
	v_mov_b32_e32 v1, s0
	global_atomic_smin v0, v1, s[6:7]
.LBB14_151:
	s_endpgm
	.section	.rodata,"a",@progbits
	.p2align	6, 0x0
	.amdhsa_kernel _ZN9rocsparseL15bsrilu0_generalILj128ELj64ELb1E21rocsparse_complex_numIfEEEv20rocsparse_direction_iPKiS5_PT2_S5_iPiS5_S8_21rocsparse_index_base_imNS_24const_host_device_scalarIfEENSA_IdEENSA_IS6_EEb
		.amdhsa_group_segment_fixed_size 0
		.amdhsa_private_segment_fixed_size 0
		.amdhsa_kernarg_size 116
		.amdhsa_user_sgpr_count 6
		.amdhsa_user_sgpr_private_segment_buffer 1
		.amdhsa_user_sgpr_dispatch_ptr 0
		.amdhsa_user_sgpr_queue_ptr 0
		.amdhsa_user_sgpr_kernarg_segment_ptr 1
		.amdhsa_user_sgpr_dispatch_id 0
		.amdhsa_user_sgpr_flat_scratch_init 0
		.amdhsa_user_sgpr_private_segment_size 0
		.amdhsa_wavefront_size32 1
		.amdhsa_uses_dynamic_stack 0
		.amdhsa_system_sgpr_private_segment_wavefront_offset 0
		.amdhsa_system_sgpr_workgroup_id_x 1
		.amdhsa_system_sgpr_workgroup_id_y 0
		.amdhsa_system_sgpr_workgroup_id_z 0
		.amdhsa_system_sgpr_workgroup_info 0
		.amdhsa_system_vgpr_workitem_id 0
		.amdhsa_next_free_vgpr 41
		.amdhsa_next_free_sgpr 45
		.amdhsa_reserve_vcc 1
		.amdhsa_reserve_flat_scratch 0
		.amdhsa_float_round_mode_32 0
		.amdhsa_float_round_mode_16_64 0
		.amdhsa_float_denorm_mode_32 3
		.amdhsa_float_denorm_mode_16_64 3
		.amdhsa_dx10_clamp 1
		.amdhsa_ieee_mode 1
		.amdhsa_fp16_overflow 0
		.amdhsa_workgroup_processor_mode 1
		.amdhsa_memory_ordered 1
		.amdhsa_forward_progress 1
		.amdhsa_shared_vgpr_count 0
		.amdhsa_exception_fp_ieee_invalid_op 0
		.amdhsa_exception_fp_denorm_src 0
		.amdhsa_exception_fp_ieee_div_zero 0
		.amdhsa_exception_fp_ieee_overflow 0
		.amdhsa_exception_fp_ieee_underflow 0
		.amdhsa_exception_fp_ieee_inexact 0
		.amdhsa_exception_int_div_zero 0
	.end_amdhsa_kernel
	.section	.text._ZN9rocsparseL15bsrilu0_generalILj128ELj64ELb1E21rocsparse_complex_numIfEEEv20rocsparse_direction_iPKiS5_PT2_S5_iPiS5_S8_21rocsparse_index_base_imNS_24const_host_device_scalarIfEENSA_IdEENSA_IS6_EEb,"axG",@progbits,_ZN9rocsparseL15bsrilu0_generalILj128ELj64ELb1E21rocsparse_complex_numIfEEEv20rocsparse_direction_iPKiS5_PT2_S5_iPiS5_S8_21rocsparse_index_base_imNS_24const_host_device_scalarIfEENSA_IdEENSA_IS6_EEb,comdat
.Lfunc_end14:
	.size	_ZN9rocsparseL15bsrilu0_generalILj128ELj64ELb1E21rocsparse_complex_numIfEEEv20rocsparse_direction_iPKiS5_PT2_S5_iPiS5_S8_21rocsparse_index_base_imNS_24const_host_device_scalarIfEENSA_IdEENSA_IS6_EEb, .Lfunc_end14-_ZN9rocsparseL15bsrilu0_generalILj128ELj64ELb1E21rocsparse_complex_numIfEEEv20rocsparse_direction_iPKiS5_PT2_S5_iPiS5_S8_21rocsparse_index_base_imNS_24const_host_device_scalarIfEENSA_IdEENSA_IS6_EEb
                                        ; -- End function
	.set _ZN9rocsparseL15bsrilu0_generalILj128ELj64ELb1E21rocsparse_complex_numIfEEEv20rocsparse_direction_iPKiS5_PT2_S5_iPiS5_S8_21rocsparse_index_base_imNS_24const_host_device_scalarIfEENSA_IdEENSA_IS6_EEb.num_vgpr, 41
	.set _ZN9rocsparseL15bsrilu0_generalILj128ELj64ELb1E21rocsparse_complex_numIfEEEv20rocsparse_direction_iPKiS5_PT2_S5_iPiS5_S8_21rocsparse_index_base_imNS_24const_host_device_scalarIfEENSA_IdEENSA_IS6_EEb.num_agpr, 0
	.set _ZN9rocsparseL15bsrilu0_generalILj128ELj64ELb1E21rocsparse_complex_numIfEEEv20rocsparse_direction_iPKiS5_PT2_S5_iPiS5_S8_21rocsparse_index_base_imNS_24const_host_device_scalarIfEENSA_IdEENSA_IS6_EEb.numbered_sgpr, 45
	.set _ZN9rocsparseL15bsrilu0_generalILj128ELj64ELb1E21rocsparse_complex_numIfEEEv20rocsparse_direction_iPKiS5_PT2_S5_iPiS5_S8_21rocsparse_index_base_imNS_24const_host_device_scalarIfEENSA_IdEENSA_IS6_EEb.num_named_barrier, 0
	.set _ZN9rocsparseL15bsrilu0_generalILj128ELj64ELb1E21rocsparse_complex_numIfEEEv20rocsparse_direction_iPKiS5_PT2_S5_iPiS5_S8_21rocsparse_index_base_imNS_24const_host_device_scalarIfEENSA_IdEENSA_IS6_EEb.private_seg_size, 0
	.set _ZN9rocsparseL15bsrilu0_generalILj128ELj64ELb1E21rocsparse_complex_numIfEEEv20rocsparse_direction_iPKiS5_PT2_S5_iPiS5_S8_21rocsparse_index_base_imNS_24const_host_device_scalarIfEENSA_IdEENSA_IS6_EEb.uses_vcc, 1
	.set _ZN9rocsparseL15bsrilu0_generalILj128ELj64ELb1E21rocsparse_complex_numIfEEEv20rocsparse_direction_iPKiS5_PT2_S5_iPiS5_S8_21rocsparse_index_base_imNS_24const_host_device_scalarIfEENSA_IdEENSA_IS6_EEb.uses_flat_scratch, 0
	.set _ZN9rocsparseL15bsrilu0_generalILj128ELj64ELb1E21rocsparse_complex_numIfEEEv20rocsparse_direction_iPKiS5_PT2_S5_iPiS5_S8_21rocsparse_index_base_imNS_24const_host_device_scalarIfEENSA_IdEENSA_IS6_EEb.has_dyn_sized_stack, 0
	.set _ZN9rocsparseL15bsrilu0_generalILj128ELj64ELb1E21rocsparse_complex_numIfEEEv20rocsparse_direction_iPKiS5_PT2_S5_iPiS5_S8_21rocsparse_index_base_imNS_24const_host_device_scalarIfEENSA_IdEENSA_IS6_EEb.has_recursion, 0
	.set _ZN9rocsparseL15bsrilu0_generalILj128ELj64ELb1E21rocsparse_complex_numIfEEEv20rocsparse_direction_iPKiS5_PT2_S5_iPiS5_S8_21rocsparse_index_base_imNS_24const_host_device_scalarIfEENSA_IdEENSA_IS6_EEb.has_indirect_call, 0
	.section	.AMDGPU.csdata,"",@progbits
; Kernel info:
; codeLenInByte = 4800
; TotalNumSgprs: 47
; NumVgprs: 41
; ScratchSize: 0
; MemoryBound: 0
; FloatMode: 240
; IeeeMode: 1
; LDSByteSize: 0 bytes/workgroup (compile time only)
; SGPRBlocks: 0
; VGPRBlocks: 5
; NumSGPRsForWavesPerEU: 47
; NumVGPRsForWavesPerEU: 41
; Occupancy: 16
; WaveLimiterHint : 1
; COMPUTE_PGM_RSRC2:SCRATCH_EN: 0
; COMPUTE_PGM_RSRC2:USER_SGPR: 6
; COMPUTE_PGM_RSRC2:TRAP_HANDLER: 0
; COMPUTE_PGM_RSRC2:TGID_X_EN: 1
; COMPUTE_PGM_RSRC2:TGID_Y_EN: 0
; COMPUTE_PGM_RSRC2:TGID_Z_EN: 0
; COMPUTE_PGM_RSRC2:TIDIG_COMP_CNT: 0
	.section	.text._ZN9rocsparseL15bsrilu0_generalILj128ELj32ELb0E21rocsparse_complex_numIfEEEv20rocsparse_direction_iPKiS5_PT2_S5_iPiS5_S8_21rocsparse_index_base_imNS_24const_host_device_scalarIfEENSA_IdEENSA_IS6_EEb,"axG",@progbits,_ZN9rocsparseL15bsrilu0_generalILj128ELj32ELb0E21rocsparse_complex_numIfEEEv20rocsparse_direction_iPKiS5_PT2_S5_iPiS5_S8_21rocsparse_index_base_imNS_24const_host_device_scalarIfEENSA_IdEENSA_IS6_EEb,comdat
	.globl	_ZN9rocsparseL15bsrilu0_generalILj128ELj32ELb0E21rocsparse_complex_numIfEEEv20rocsparse_direction_iPKiS5_PT2_S5_iPiS5_S8_21rocsparse_index_base_imNS_24const_host_device_scalarIfEENSA_IdEENSA_IS6_EEb ; -- Begin function _ZN9rocsparseL15bsrilu0_generalILj128ELj32ELb0E21rocsparse_complex_numIfEEEv20rocsparse_direction_iPKiS5_PT2_S5_iPiS5_S8_21rocsparse_index_base_imNS_24const_host_device_scalarIfEENSA_IdEENSA_IS6_EEb
	.p2align	8
	.type	_ZN9rocsparseL15bsrilu0_generalILj128ELj32ELb0E21rocsparse_complex_numIfEEEv20rocsparse_direction_iPKiS5_PT2_S5_iPiS5_S8_21rocsparse_index_base_imNS_24const_host_device_scalarIfEENSA_IdEENSA_IS6_EEb,@function
_ZN9rocsparseL15bsrilu0_generalILj128ELj32ELb0E21rocsparse_complex_numIfEEEv20rocsparse_direction_iPKiS5_PT2_S5_iPiS5_S8_21rocsparse_index_base_imNS_24const_host_device_scalarIfEENSA_IdEENSA_IS6_EEb: ; @_ZN9rocsparseL15bsrilu0_generalILj128ELj32ELb0E21rocsparse_complex_numIfEEEv20rocsparse_direction_iPKiS5_PT2_S5_iPiS5_S8_21rocsparse_index_base_imNS_24const_host_device_scalarIfEENSA_IdEENSA_IS6_EEb
; %bb.0:
	s_clause 0x2
	s_load_dword s0, s[4:5], 0x70
	s_load_dwordx2 s[24:25], s[4:5], 0x48
	s_load_dwordx8 s[16:23], s[4:5], 0x50
	s_waitcnt lgkmcnt(0)
	s_bitcmp1_b32 s0, 0
	s_cselect_b32 s2, -1, 0
	s_cmp_eq_u32 s25, 0
	s_cselect_b32 s8, -1, 0
	s_cmp_lg_u32 s25, 0
	s_cselect_b32 s3, -1, 0
	s_or_b32 s9, s8, s2
	s_xor_b32 s7, s9, -1
	s_and_b32 s0, s8, exec_lo
	s_cselect_b32 s1, 0, s21
	s_cselect_b32 s0, 0, s20
	s_and_b32 vcc_lo, exec_lo, s9
	s_cbranch_vccnz .LBB15_2
; %bb.1:
	s_load_dword s0, s[18:19], 0x0
	s_waitcnt lgkmcnt(0)
	v_mov_b32_e32 v26, s0
	s_mov_b64 s[0:1], s[20:21]
	v_mov_b32_e32 v7, s1
	v_mov_b32_e32 v6, s0
	s_andn2_b32 vcc_lo, exec_lo, s7
	s_cbranch_vccz .LBB15_3
	s_branch .LBB15_4
.LBB15_2:
	v_cndmask_b32_e64 v26, s18, 0, s8
	v_mov_b32_e32 v7, s1
	v_mov_b32_e32 v6, s0
	s_andn2_b32 vcc_lo, exec_lo, s7
	s_cbranch_vccnz .LBB15_4
.LBB15_3:
	v_mov_b32_e32 v1, s20
	v_mov_b32_e32 v2, s21
	flat_load_dwordx2 v[6:7], v[1:2]
.LBB15_4:
	v_cndmask_b32_e64 v25, 0, 1, s3
	s_mov_b32 s25, 0
	s_andn2_b32 vcc_lo, exec_lo, s3
	s_mov_b32 s28, s25
	s_cbranch_vccnz .LBB15_10
; %bb.5:
	s_xor_b32 s0, s2, -1
	s_mov_b32 s25, s22
	v_cndmask_b32_e64 v1, 0, 1, s0
	s_andn2_b32 vcc_lo, exec_lo, s0
	s_cbranch_vccnz .LBB15_7
; %bb.6:
	s_load_dword s25, s[22:23], 0x0
.LBB15_7:
	v_cmp_ne_u32_e32 vcc_lo, 1, v1
	s_cbranch_vccnz .LBB15_9
; %bb.8:
	s_load_dword s23, s[22:23], 0x4
.LBB15_9:
	s_waitcnt lgkmcnt(0)
	s_mov_b32 s28, s23
.LBB15_10:
	s_load_dwordx2 s[26:27], s[4:5], 0x0
	v_lshrrev_b32_e32 v1, 5, v0
	s_lshl_b32 s0, s6, 2
	v_and_or_b32 v1, 0x7fffffc, s0, v1
	s_mov_b32 s0, exec_lo
	s_waitcnt lgkmcnt(0)
	v_cmpx_gt_i32_e64 s27, v1
	s_cbranch_execz .LBB15_149
; %bb.11:
	s_clause 0x1
	s_load_dwordx4 s[20:23], s[4:5], 0x30
	s_load_dwordx2 s[6:7], s[4:5], 0x40
	v_lshlrev_b32_e32 v1, 2, v1
	s_load_dwordx8 s[8:15], s[4:5], 0x8
	v_and_b32_e32 v0, 31, v0
	s_mov_b32 s0, -1
	s_mov_b32 s19, exec_lo
	s_waitcnt lgkmcnt(0)
	global_load_dword v1, v1, s[22:23]
	s_waitcnt vmcnt(0)
	v_ashrrev_i32_e32 v2, 31, v1
	v_lshlrev_b64 v[2:3], 2, v[1:2]
	v_add_co_u32 v4, vcc_lo, s14, v2
	v_add_co_ci_u32_e64 v5, null, s15, v3, vcc_lo
	global_load_dword v4, v[4:5], off
	s_waitcnt vmcnt(0)
	v_cmpx_ne_u32_e32 -1, v4
	s_cbranch_execz .LBB15_143
; %bb.12:
	v_add_co_u32 v8, vcc_lo, s8, v2
	v_add_co_ci_u32_e64 v9, null, s9, v3, vcc_lo
	s_load_dword s18, s[4:5], 0x28
	s_mov_b32 s3, 0
	s_mov_b32 s5, exec_lo
	global_load_dwordx2 v[8:9], v[8:9], off
	s_waitcnt vmcnt(0)
	v_subrev_nc_u32_e32 v8, s24, v8
	v_subrev_nc_u32_e32 v24, s24, v9
	v_cmpx_lt_i32_e64 v8, v4
	s_cbranch_execz .LBB15_78
; %bb.13:
	v_add_nc_u32_e32 v10, v8, v0
	s_waitcnt lgkmcnt(0)
	v_mad_u64_u32 v[12:13], null, s18, v8, v[0:1]
	s_cmp_gt_i32 s18, 0
	v_cmp_gt_i32_e64 s0, s18, v0
	v_ashrrev_i32_e32 v11, 31, v10
	v_cmp_le_i32_e64 s1, s18, v0
	v_cmp_lt_i32_e64 s2, v10, v24
	s_cselect_b32 s22, -1, 0
	v_mul_lo_u32 v27, s18, v12
	v_lshlrev_b64 v[13:14], 2, v[10:11]
	s_cmp_lg_u32 s26, 0
	s_mov_b32 s29, 0
	s_cselect_b32 s23, -1, 0
	s_add_i32 s27, s27, 1
	s_mul_i32 s30, s18, s18
	v_add_co_u32 v11, vcc_lo, s10, v13
	v_add_co_ci_u32_e64 v12, null, s11, v14, vcc_lo
	v_add_nc_u32_e32 v28, 1, v27
	s_add_i32 s31, s18, 1
	s_lshl_b32 s33, s18, 5
	s_add_i32 s34, s18, -1
	s_mov_b32 s35, 0
                                        ; implicit-def: $sgpr36
                                        ; implicit-def: $sgpr37
	s_branch .LBB15_16
.LBB15_14:                              ;   in Loop: Header=BB15_16 Depth=1
	s_or_b32 exec_lo, exec_lo, s4
	s_andn2_b32 s4, s37, exec_lo
	s_and_b32 s29, s29, exec_lo
	s_or_b32 s37, s4, s29
.LBB15_15:                              ;   in Loop: Header=BB15_16 Depth=1
	s_or_b32 exec_lo, exec_lo, s38
	v_add_nc_u32_e32 v8, 1, v8
	s_xor_b32 s3, s3, -1
	v_add_nc_u32_e32 v28, s30, v28
	v_add_nc_u32_e32 v27, s30, v27
	s_mov_b32 s29, s37
	v_cmp_ge_i32_e32 vcc_lo, v8, v4
	s_or_b32 s3, s3, vcc_lo
	s_and_b32 s3, exec_lo, s3
	s_or_b32 s35, s3, s35
	s_andn2_b32 s3, s36, exec_lo
	s_and_b32 s4, s37, exec_lo
	s_or_b32 s36, s3, s4
	s_andn2_b32 exec_lo, exec_lo, s35
	s_cbranch_execz .LBB15_77
.LBB15_16:                              ; =>This Loop Header: Depth=1
                                        ;     Child Loop BB15_19 Depth 2
                                        ;     Child Loop BB15_24 Depth 2
                                        ;       Child Loop BB15_29 Depth 3
                                        ;         Child Loop BB15_38 Depth 4
                                        ;     Child Loop BB15_51 Depth 2
                                        ;       Child Loop BB15_56 Depth 3
                                        ;       Child Loop BB15_63 Depth 3
                                        ;         Child Loop BB15_65 Depth 4
                                        ;           Child Loop BB15_67 Depth 5
	v_ashrrev_i32_e32 v9, 31, v8
	s_or_b32 s37, s37, exec_lo
	v_lshlrev_b64 v[13:14], 2, v[8:9]
	v_add_co_u32 v13, vcc_lo, s10, v13
	v_add_co_ci_u32_e64 v14, null, s11, v14, vcc_lo
	s_waitcnt lgkmcnt(0)
	global_load_dword v5, v[13:14], off
	s_waitcnt vmcnt(0)
	v_subrev_nc_u32_e32 v13, s24, v5
	v_ashrrev_i32_e32 v14, 31, v13
	v_lshlrev_b64 v[13:14], 2, v[13:14]
	v_add_co_u32 v15, vcc_lo, s14, v13
	v_add_co_ci_u32_e64 v16, null, s15, v14, vcc_lo
	global_load_dword v30, v[15:16], off
	s_waitcnt vmcnt(0)
	v_cmp_ne_u32_e64 s3, -1, v30
	s_and_saveexec_b32 s38, s3
	s_cbranch_execz .LBB15_15
; %bb.17:                               ;   in Loop: Header=BB15_16 Depth=1
	v_add_co_u32 v15, vcc_lo, s8, v13
	v_add_co_ci_u32_e64 v16, null, s9, v14, vcc_lo
	v_add_co_u32 v13, vcc_lo, s20, v13
	v_add_co_ci_u32_e64 v14, null, s21, v14, vcc_lo
	global_load_dword v31, v[15:16], off offset:4
	global_load_dword v5, v[13:14], off glc dlc
	s_mov_b32 s4, exec_lo
	s_waitcnt vmcnt(0)
	v_cmpx_eq_u32_e32 0, v5
	s_cbranch_execz .LBB15_20
; %bb.18:                               ;   in Loop: Header=BB15_16 Depth=1
	s_mov_b32 s39, 0
.LBB15_19:                              ;   Parent Loop BB15_16 Depth=1
                                        ; =>  This Inner Loop Header: Depth=2
	global_load_dword v5, v[13:14], off glc dlc
	s_waitcnt vmcnt(0)
	v_cmp_ne_u32_e32 vcc_lo, 0, v5
	s_or_b32 s39, vcc_lo, s39
	s_andn2_b32 exec_lo, exec_lo, s39
	s_cbranch_execnz .LBB15_19
.LBB15_20:                              ;   in Loop: Header=BB15_16 Depth=1
	s_or_b32 exec_lo, exec_lo, s4
	v_mul_lo_u32 v29, v8, s18
	s_andn2_b32 vcc_lo, exec_lo, s22
	buffer_gl1_inv
	buffer_gl0_inv
	s_cbranch_vccnz .LBB15_47
; %bb.21:                               ;   in Loop: Header=BB15_16 Depth=1
	v_mul_lo_u32 v32, v30, s18
	v_mad_u64_u32 v[13:14], null, s30, v30, 1
	v_mov_b32_e32 v5, 0
	v_mov_b32_e32 v33, v28
	s_mov_b32 s39, 0
	s_mov_b32 s40, s34
	s_branch .LBB15_24
.LBB15_22:                              ;   in Loop: Header=BB15_24 Depth=2
	s_or_b32 exec_lo, exec_lo, s42
	v_mov_b32_e32 v5, v34
.LBB15_23:                              ;   in Loop: Header=BB15_24 Depth=2
	s_or_b32 exec_lo, exec_lo, s41
	v_cmp_eq_u32_e32 vcc_lo, s18, v5
	v_add_nc_u32_e32 v13, s31, v13
	v_add_nc_u32_e32 v33, 1, v33
	s_add_i32 s40, s40, -1
	s_or_b32 s39, vcc_lo, s39
	s_andn2_b32 exec_lo, exec_lo, s39
	s_cbranch_execz .LBB15_46
.LBB15_24:                              ;   Parent Loop BB15_16 Depth=1
                                        ; =>  This Loop Header: Depth=2
                                        ;       Child Loop BB15_29 Depth 3
                                        ;         Child Loop BB15_38 Depth 4
	v_add_nc_u32_e32 v34, 1, v5
	s_and_saveexec_b32 s4, s1
	s_xor_b32 s4, exec_lo, s4
; %bb.25:                               ;   in Loop: Header=BB15_24 Depth=2
	v_add_nc_u32_e32 v5, 1, v5
                                        ; implicit-def: $vgpr34
; %bb.26:                               ;   in Loop: Header=BB15_24 Depth=2
	s_andn2_saveexec_b32 s41, s4
	s_cbranch_execz .LBB15_23
; %bb.27:                               ;   in Loop: Header=BB15_24 Depth=2
	v_add_nc_u32_e32 v9, v5, v32
	v_cmp_gt_i32_e64 s4, s18, v34
	v_mov_b32_e32 v36, v33
	s_mov_b32 s42, 0
	v_mad_u64_u32 v[14:15], null, v9, s18, v[5:6]
	v_ashrrev_i32_e32 v15, 31, v14
	v_lshlrev_b64 v[14:15], 3, v[14:15]
	v_add_co_u32 v14, vcc_lo, s12, v14
	v_add_co_ci_u32_e64 v15, null, s13, v15, vcc_lo
	global_load_dwordx2 v[14:15], v[14:15], off
	s_waitcnt vmcnt(0)
	v_mul_f32_e32 v9, v15, v15
	v_fmac_f32_e32 v9, v14, v14
	v_div_scale_f32 v16, null, v9, v9, 1.0
	v_div_scale_f32 v19, vcc_lo, 1.0, v9, 1.0
	v_rcp_f32_e32 v17, v16
	v_fma_f32 v18, -v16, v17, 1.0
	v_fmac_f32_e32 v17, v18, v17
	v_mul_f32_e32 v18, v19, v17
	v_fma_f32 v20, -v16, v18, v19
	v_fmac_f32_e32 v18, v20, v17
	v_fma_f32 v16, -v16, v18, v19
	v_add_nc_u32_e32 v19, v5, v29
	v_div_fmas_f32 v16, v16, v17, v18
	v_mul_lo_u32 v35, v19, s18
	v_div_fixup_f32 v37, v16, v9, 1.0
	v_mov_b32_e32 v9, v0
	s_branch .LBB15_29
.LBB15_28:                              ;   in Loop: Header=BB15_29 Depth=3
	s_or_b32 exec_lo, exec_lo, s43
	v_add_nc_u32_e32 v9, 32, v9
	v_add_nc_u32_e32 v36, s33, v36
	v_cmp_le_i32_e32 vcc_lo, s18, v9
	s_or_b32 s42, vcc_lo, s42
	s_andn2_b32 exec_lo, exec_lo, s42
	s_cbranch_execz .LBB15_22
.LBB15_29:                              ;   Parent Loop BB15_16 Depth=1
                                        ;     Parent Loop BB15_24 Depth=2
                                        ; =>    This Loop Header: Depth=3
                                        ;         Child Loop BB15_38 Depth 4
	v_add_nc_u32_e32 v16, v9, v35
	s_and_b32 vcc_lo, exec_lo, s23
	s_cbranch_vccz .LBB15_44
; %bb.30:                               ;   in Loop: Header=BB15_29 Depth=3
	v_add_nc_u32_e32 v17, v9, v35
	v_add_nc_u32_e32 v20, v9, v29
	s_cbranch_execnz .LBB15_32
.LBB15_31:                              ;   in Loop: Header=BB15_29 Depth=3
	v_mad_u64_u32 v[17:18], null, v20, s18, v[5:6]
.LBB15_32:                              ;   in Loop: Header=BB15_29 Depth=3
	v_ashrrev_i32_e32 v18, 31, v17
	v_lshlrev_b64 v[17:18], 3, v[17:18]
	v_add_co_u32 v17, vcc_lo, s12, v17
	v_add_co_ci_u32_e64 v18, null, s13, v18, vcc_lo
	s_and_b32 vcc_lo, exec_lo, s23
	global_load_dwordx2 v[18:19], v[17:18], off
	s_cbranch_vccz .LBB15_45
; %bb.33:                               ;   in Loop: Header=BB15_29 Depth=3
	s_cbranch_execnz .LBB15_35
.LBB15_34:                              ;   in Loop: Header=BB15_29 Depth=3
	v_mad_u64_u32 v[16:17], null, v20, s18, v[5:6]
.LBB15_35:                              ;   in Loop: Header=BB15_29 Depth=3
	s_waitcnt vmcnt(0)
	v_mul_f32_e32 v20, v15, v19
	v_mul_f32_e64 v21, v15, -v18
	v_ashrrev_i32_e32 v17, 31, v16
	v_fmac_f32_e32 v20, v18, v14
	v_fmac_f32_e32 v21, v19, v14
	v_lshlrev_b64 v[18:19], 3, v[16:17]
	v_mul_f32_e32 v16, v37, v20
	v_mul_f32_e32 v17, v37, v21
	v_add_co_u32 v18, vcc_lo, s12, v18
	v_add_co_ci_u32_e64 v19, null, s13, v19, vcc_lo
	global_store_dwordx2 v[18:19], v[16:17], off
	s_and_saveexec_b32 s43, s4
	s_cbranch_execz .LBB15_28
; %bb.36:                               ;   in Loop: Header=BB15_29 Depth=3
	v_mov_b32_e32 v38, v36
	v_mov_b32_e32 v39, v13
	;; [unrolled: 1-line block ×3, first 2 shown]
	s_mov_b32 s44, s40
	s_branch .LBB15_38
.LBB15_37:                              ;   in Loop: Header=BB15_38 Depth=4
	v_ashrrev_i32_e32 v23, 31, v22
	s_waitcnt vmcnt(0)
	v_fma_f32 v20, -v16, v18, v20
	v_fma_f32 v18, -v17, v18, v21
	v_add_nc_u32_e32 v40, 1, v40
	v_add_nc_u32_e32 v39, 1, v39
	v_lshlrev_b64 v[22:23], 3, v[22:23]
	v_fmac_f32_e32 v20, v17, v19
	v_fma_f32 v21, -v16, v19, v18
	v_add_nc_u32_e32 v38, 1, v38
	s_add_i32 s44, s44, -1
	s_cmp_eq_u32 s44, 0
	v_add_co_u32 v18, vcc_lo, s12, v22
	v_add_co_ci_u32_e64 v19, null, s13, v23, vcc_lo
	global_store_dwordx2 v[18:19], v[20:21], off
	s_cbranch_scc1 .LBB15_28
.LBB15_38:                              ;   Parent Loop BB15_16 Depth=1
                                        ;     Parent Loop BB15_24 Depth=2
                                        ;       Parent Loop BB15_29 Depth=3
                                        ; =>      This Inner Loop Header: Depth=4
	v_mov_b32_e32 v18, v39
	s_andn2_b32 vcc_lo, exec_lo, s23
	s_cbranch_vccnz .LBB15_40
; %bb.39:                               ;   in Loop: Header=BB15_38 Depth=4
	v_add_nc_u32_e32 v18, v40, v32
	v_mad_u64_u32 v[18:19], null, v18, s18, v[5:6]
.LBB15_40:                              ;   in Loop: Header=BB15_38 Depth=4
	v_ashrrev_i32_e32 v19, 31, v18
	v_add_nc_u32_e32 v23, v40, v29
	v_mov_b32_e32 v20, v38
	v_lshlrev_b64 v[18:19], 3, v[18:19]
	v_add_co_u32 v18, vcc_lo, s12, v18
	v_add_co_ci_u32_e64 v19, null, s13, v19, vcc_lo
	s_andn2_b32 vcc_lo, exec_lo, s23
	global_load_dwordx2 v[18:19], v[18:19], off
	s_cbranch_vccnz .LBB15_42
; %bb.41:                               ;   in Loop: Header=BB15_38 Depth=4
	v_mad_u64_u32 v[20:21], null, v23, s18, v[9:10]
.LBB15_42:                              ;   in Loop: Header=BB15_38 Depth=4
	v_ashrrev_i32_e32 v21, 31, v20
	v_mov_b32_e32 v22, v38
	v_lshlrev_b64 v[20:21], 3, v[20:21]
	v_add_co_u32 v20, vcc_lo, s12, v20
	v_add_co_ci_u32_e64 v21, null, s13, v21, vcc_lo
	s_andn2_b32 vcc_lo, exec_lo, s23
	global_load_dwordx2 v[20:21], v[20:21], off
	s_cbranch_vccnz .LBB15_37
; %bb.43:                               ;   in Loop: Header=BB15_38 Depth=4
	v_mad_u64_u32 v[22:23], null, v23, s18, v[9:10]
	s_branch .LBB15_37
.LBB15_44:                              ;   in Loop: Header=BB15_29 Depth=3
                                        ; implicit-def: $vgpr17
	v_add_nc_u32_e32 v20, v9, v29
	s_branch .LBB15_31
.LBB15_45:                              ;   in Loop: Header=BB15_29 Depth=3
                                        ; implicit-def: $vgpr16
	s_branch .LBB15_34
.LBB15_46:                              ;   in Loop: Header=BB15_16 Depth=1
	s_or_b32 exec_lo, exec_lo, s39
.LBB15_47:                              ;   in Loop: Header=BB15_16 Depth=1
	v_subrev_nc_u32_e32 v9, s24, v31
	v_add_nc_u32_e32 v13, 1, v30
	s_mov_b32 s4, exec_lo
	v_cmpx_lt_i32_e64 v13, v9
	s_cbranch_execz .LBB15_14
; %bb.48:                               ;   in Loop: Header=BB15_16 Depth=1
	v_mul_lo_u32 v18, s30, v13
	s_mov_b32 s39, 0
	s_branch .LBB15_51
.LBB15_49:                              ;   in Loop: Header=BB15_51 Depth=2
	s_or_b32 exec_lo, exec_lo, s40
.LBB15_50:                              ;   in Loop: Header=BB15_51 Depth=2
	v_add_nc_u32_e32 v13, 1, v13
	v_add_nc_u32_e32 v18, s30, v18
	v_cmp_ge_i32_e32 vcc_lo, v13, v9
	s_or_b32 s39, vcc_lo, s39
	s_andn2_b32 exec_lo, exec_lo, s39
	s_cbranch_execz .LBB15_14
.LBB15_51:                              ;   Parent Loop BB15_16 Depth=1
                                        ; =>  This Loop Header: Depth=2
                                        ;       Child Loop BB15_56 Depth 3
                                        ;       Child Loop BB15_63 Depth 3
                                        ;         Child Loop BB15_65 Depth 4
                                        ;           Child Loop BB15_67 Depth 5
	v_ashrrev_i32_e32 v14, 31, v13
	v_lshlrev_b64 v[14:15], 2, v[13:14]
	v_add_co_u32 v14, vcc_lo, s10, v14
	v_add_co_ci_u32_e64 v15, null, s11, v15, vcc_lo
	s_waitcnt lgkmcnt(0)
	global_load_dword v5, v[14:15], off
	v_mov_b32_e32 v15, s27
	s_and_saveexec_b32 s40, s2
	s_cbranch_execz .LBB15_53
; %bb.52:                               ;   in Loop: Header=BB15_51 Depth=2
	global_load_dword v14, v[11:12], off
	s_waitcnt vmcnt(0)
	v_subrev_nc_u32_e32 v15, s24, v14
.LBB15_53:                              ;   in Loop: Header=BB15_51 Depth=2
	s_or_b32 exec_lo, exec_lo, s40
	s_waitcnt vmcnt(0)
	v_subrev_nc_u32_e32 v5, s24, v5
	v_mov_b32_e32 v16, v10
	s_mov_b32 s40, exec_lo
	v_cmpx_lt_i32_e64 v15, v5
	s_cbranch_execz .LBB15_59
; %bb.54:                               ;   in Loop: Header=BB15_51 Depth=2
	v_mov_b32_e32 v14, v10
	s_mov_b32 s41, 0
	s_branch .LBB15_56
	.p2align	6
.LBB15_55:                              ;   in Loop: Header=BB15_56 Depth=3
	s_or_b32 exec_lo, exec_lo, s42
	v_cmp_ge_i32_e32 vcc_lo, v15, v5
	v_mov_b32_e32 v14, v16
	s_or_b32 s41, vcc_lo, s41
	s_andn2_b32 exec_lo, exec_lo, s41
	s_cbranch_execz .LBB15_58
.LBB15_56:                              ;   Parent Loop BB15_16 Depth=1
                                        ;     Parent Loop BB15_51 Depth=2
                                        ; =>    This Inner Loop Header: Depth=3
	v_add_nc_u32_e32 v16, 32, v14
	v_mov_b32_e32 v15, s27
	s_mov_b32 s42, exec_lo
	v_cmpx_lt_i32_e64 v16, v24
	s_cbranch_execz .LBB15_55
; %bb.57:                               ;   in Loop: Header=BB15_56 Depth=3
	v_ashrrev_i32_e32 v15, 31, v14
	v_lshlrev_b64 v[14:15], 2, v[14:15]
	v_add_co_u32 v14, vcc_lo, s10, v14
	v_add_co_ci_u32_e64 v15, null, s11, v15, vcc_lo
	global_load_dword v14, v[14:15], off offset:128
	s_waitcnt vmcnt(0)
	v_subrev_nc_u32_e32 v15, s24, v14
	s_branch .LBB15_55
.LBB15_58:                              ;   in Loop: Header=BB15_51 Depth=2
	s_or_b32 exec_lo, exec_lo, s41
.LBB15_59:                              ;   in Loop: Header=BB15_51 Depth=2
	s_or_b32 exec_lo, exec_lo, s40
	v_cmp_eq_u32_e32 vcc_lo, v15, v5
	s_cbranch_vccz .LBB15_50
; %bb.60:                               ;   in Loop: Header=BB15_51 Depth=2
	s_ff1_i32_b32 s40, vcc_lo
	s_lshl_b32 s40, s40, 2
	v_mov_b32_e32 v5, s40
	ds_bpermute_b32 v5, v5, v16
	s_and_saveexec_b32 s40, s0
	s_cbranch_execz .LBB15_49
; %bb.61:                               ;   in Loop: Header=BB15_51 Depth=2
	v_mul_lo_u32 v19, v13, s18
	s_waitcnt lgkmcnt(0)
	v_mul_lo_u32 v20, v5, s18
	v_mov_b32_e32 v21, v27
	v_mov_b32_e32 v5, v0
	s_mov_b32 s41, 0
	s_branch .LBB15_63
.LBB15_62:                              ;   in Loop: Header=BB15_63 Depth=3
	v_add_nc_u32_e32 v5, 32, v5
	v_add_nc_u32_e32 v21, s33, v21
	v_cmp_le_i32_e32 vcc_lo, s18, v5
	s_or_b32 s41, vcc_lo, s41
	s_andn2_b32 exec_lo, exec_lo, s41
	s_cbranch_execz .LBB15_49
.LBB15_63:                              ;   Parent Loop BB15_16 Depth=1
                                        ;     Parent Loop BB15_51 Depth=2
                                        ; =>    This Loop Header: Depth=3
                                        ;         Child Loop BB15_65 Depth 4
                                        ;           Child Loop BB15_67 Depth 5
	v_add_nc_u32_e32 v14, v5, v20
	v_mov_b32_e32 v23, v18
	s_mov_b32 s42, 0
	v_mul_lo_u32 v22, v14, s18
	s_branch .LBB15_65
.LBB15_64:                              ;   in Loop: Header=BB15_65 Depth=4
	v_ashrrev_i32_e32 v15, 31, v14
	v_add_nc_u32_e32 v23, 1, v23
	s_add_i32 s42, s42, 1
	s_cmp_eq_u32 s42, s18
	v_lshlrev_b64 v[14:15], 3, v[14:15]
	v_add_co_u32 v14, vcc_lo, s12, v14
	v_add_co_ci_u32_e64 v15, null, s13, v15, vcc_lo
	global_load_dwordx2 v[16:17], v[14:15], off
	s_waitcnt vmcnt(0)
	v_sub_f32_e32 v16, v16, v30
	v_sub_f32_e32 v17, v17, v31
	global_store_dwordx2 v[14:15], v[16:17], off
	s_cbranch_scc1 .LBB15_62
.LBB15_65:                              ;   Parent Loop BB15_16 Depth=1
                                        ;     Parent Loop BB15_51 Depth=2
                                        ;       Parent Loop BB15_63 Depth=3
                                        ; =>      This Loop Header: Depth=4
                                        ;           Child Loop BB15_67 Depth 5
	v_add_nc_u32_e32 v14, s42, v19
	v_mov_b32_e32 v30, 0
	v_mov_b32_e32 v33, v23
	;; [unrolled: 1-line block ×3, first 2 shown]
	s_mov_b32 s43, 0
	v_mul_lo_u32 v32, v14, s18
	s_inst_prefetch 0x1
	s_branch .LBB15_67
	.p2align	6
.LBB15_66:                              ;   in Loop: Header=BB15_67 Depth=5
	v_ashrrev_i32_e32 v17, 31, v16
	v_add_nc_u32_e32 v33, s18, v33
	s_add_i32 s43, s43, 1
	s_cmp_eq_u32 s18, s43
	v_lshlrev_b64 v[16:17], 3, v[16:17]
	v_add_co_u32 v16, vcc_lo, s12, v16
	v_add_co_ci_u32_e64 v17, null, s13, v17, vcc_lo
	global_load_dwordx2 v[16:17], v[16:17], off
	s_waitcnt vmcnt(0)
	v_fmac_f32_e32 v30, v14, v16
	v_fmac_f32_e32 v31, v15, v16
	v_fma_f32 v30, -v15, v17, v30
	v_fmac_f32_e32 v31, v14, v17
	s_cbranch_scc1 .LBB15_73
.LBB15_67:                              ;   Parent Loop BB15_16 Depth=1
                                        ;     Parent Loop BB15_51 Depth=2
                                        ;       Parent Loop BB15_63 Depth=3
                                        ;         Parent Loop BB15_65 Depth=4
                                        ; =>        This Inner Loop Header: Depth=5
	s_and_b32 vcc_lo, exec_lo, s23
	s_cbranch_vccz .LBB15_72
; %bb.68:                               ;   in Loop: Header=BB15_67 Depth=5
	v_add_nc_u32_e32 v14, s43, v29
	v_mad_u64_u32 v[14:15], null, v14, s18, v[5:6]
	s_cbranch_execnz .LBB15_70
.LBB15_69:                              ;   in Loop: Header=BB15_67 Depth=5
	v_add_nc_u32_e32 v14, s43, v21
.LBB15_70:                              ;   in Loop: Header=BB15_67 Depth=5
	v_ashrrev_i32_e32 v15, 31, v14
	v_mov_b32_e32 v16, v33
	v_lshlrev_b64 v[14:15], 3, v[14:15]
	v_add_co_u32 v14, vcc_lo, s12, v14
	v_add_co_ci_u32_e64 v15, null, s13, v15, vcc_lo
	s_andn2_b32 vcc_lo, exec_lo, s23
	global_load_dwordx2 v[14:15], v[14:15], off
	s_cbranch_vccnz .LBB15_66
; %bb.71:                               ;   in Loop: Header=BB15_67 Depth=5
	v_add_nc_u32_e32 v16, s43, v32
	s_branch .LBB15_66
.LBB15_72:                              ;   in Loop: Header=BB15_67 Depth=5
                                        ; implicit-def: $vgpr14
	s_branch .LBB15_69
.LBB15_73:                              ;   in Loop: Header=BB15_65 Depth=4
	s_inst_prefetch 0x2
	s_and_b32 vcc_lo, exec_lo, s23
	s_cbranch_vccz .LBB15_75
; %bb.74:                               ;   in Loop: Header=BB15_65 Depth=4
	v_add_nc_u32_e32 v14, s42, v20
	v_mad_u64_u32 v[14:15], null, v14, s18, v[5:6]
	s_cbranch_execnz .LBB15_64
	s_branch .LBB15_76
.LBB15_75:                              ;   in Loop: Header=BB15_65 Depth=4
                                        ; implicit-def: $vgpr14
.LBB15_76:                              ;   in Loop: Header=BB15_65 Depth=4
	v_add_nc_u32_e32 v14, s42, v22
	s_branch .LBB15_64
.LBB15_77:
	s_or_b32 exec_lo, exec_lo, s35
	s_and_b32 s3, s36, exec_lo
.LBB15_78:
	s_or_b32 exec_lo, exec_lo, s5
	s_waitcnt lgkmcnt(0)
	v_ashrrev_i32_e32 v5, 31, v4
	s_cmp_gt_i32 s18, 0
	s_mov_b32 s8, 0
	s_cselect_b32 s4, -1, 0
	v_lshlrev_b64 v[8:9], 2, v[4:5]
	v_add_co_u32 v8, vcc_lo, s10, v8
	v_add_co_ci_u32_e64 v9, null, s11, v9, vcc_lo
	global_load_dword v5, v[8:9], off
	s_waitcnt vmcnt(0)
	v_subrev_nc_u32_e32 v5, s24, v5
	v_cmp_eq_u32_e32 vcc_lo, v5, v1
	s_and_b32 s0, s4, vcc_lo
	s_and_saveexec_b32 s5, s0
	s_cbranch_execz .LBB15_118
; %bb.79:
	v_cvt_f64_f32_e32 v[11:12], v26
	v_mul_lo_u32 v21, v4, s18
	s_cmp_eq_u64 s[16:17], 8
	s_mul_i32 s1, s18, s18
	s_cselect_b32 vcc_lo, -1, 0
	s_cmp_lg_u32 s26, 0
	v_mad_u64_u32 v[8:9], null, v4, s1, 1
	s_cselect_b32 s9, -1, 0
	v_add_nc_u32_e32 v5, v21, v0
	s_add_i32 s2, s18, 1
	v_cmp_eq_u32_e64 s0, 0, v0
	s_lshl_b32 s10, s18, 5
	s_add_i32 s11, s18, -1
	v_mad_u64_u32 v[9:10], null, s18, v5, s[2:3]
	v_mov_b32_e32 v5, 0
	s_mov_b32 s15, s3
                                        ; implicit-def: $sgpr14
	v_cndmask_b32_e32 v7, v12, v7, vcc_lo
	v_cndmask_b32_e32 v6, v11, v6, vcc_lo
	s_branch .LBB15_81
.LBB15_80:                              ;   in Loop: Header=BB15_81 Depth=1
	s_or_b32 exec_lo, exec_lo, s1
	v_cmp_eq_u32_e32 vcc_lo, s18, v23
	s_add_i32 s11, s11, -1
	v_add_nc_u32_e32 v8, s2, v8
	v_add_nc_u32_e32 v9, s2, v9
	v_mov_b32_e32 v5, v23
	s_or_b32 s8, vcc_lo, s8
	s_andn2_b32 s1, s14, exec_lo
	s_and_b32 s14, s15, exec_lo
	s_or_b32 s14, s1, s14
	s_andn2_b32 exec_lo, exec_lo, s8
	s_cbranch_execz .LBB15_117
.LBB15_81:                              ; =>This Loop Header: Depth=1
                                        ;     Child Loop BB15_97 Depth 2
                                        ;       Child Loop BB15_106 Depth 3
	v_add_nc_u32_e32 v10, v5, v21
	s_mov_b32 s16, 0
	s_mov_b32 s17, 0
	s_mov_b32 s1, -1
                                        ; implicit-def: $vgpr14
	v_mul_lo_u32 v22, v10, s18
	v_add_nc_u32_e32 v10, v22, v5
	v_ashrrev_i32_e32 v11, 31, v10
	v_lshlrev_b64 v[10:11], 3, v[10:11]
	v_add_co_u32 v12, vcc_lo, s12, v10
	v_add_co_ci_u32_e64 v13, null, s13, v11, vcc_lo
	v_cmp_ne_u32_e32 vcc_lo, 1, v25
	global_load_dwordx2 v[10:11], v[12:13], off
	s_cbranch_vccnz .LBB15_91
; %bb.82:                               ;   in Loop: Header=BB15_81 Depth=1
	s_waitcnt vmcnt(0)
	v_cmp_gt_f32_e32 vcc_lo, 0, v10
                                        ; implicit-def: $vgpr16
	s_mov_b32 s1, exec_lo
	v_cndmask_b32_e64 v14, v10, -v10, vcc_lo
	v_cmp_gt_f32_e32 vcc_lo, 0, v11
	v_cndmask_b32_e64 v15, v11, -v11, vcc_lo
	v_cmpx_ngt_f32_e32 v14, v15
	s_xor_b32 s17, exec_lo, s1
	s_cbranch_execz .LBB15_86
; %bb.83:                               ;   in Loop: Header=BB15_81 Depth=1
	v_mov_b32_e32 v16, 0
	s_mov_b32 s22, exec_lo
	v_cmpx_neq_f32_e32 0, v11
	s_cbranch_execz .LBB15_85
; %bb.84:                               ;   in Loop: Header=BB15_81 Depth=1
	v_div_scale_f32 v16, null, v15, v15, v14
	v_div_scale_f32 v19, vcc_lo, v14, v15, v14
	v_rcp_f32_e32 v17, v16
	v_fma_f32 v18, -v16, v17, 1.0
	v_fmac_f32_e32 v17, v18, v17
	v_mul_f32_e32 v18, v19, v17
	v_fma_f32 v20, -v16, v18, v19
	v_fmac_f32_e32 v18, v20, v17
	v_fma_f32 v16, -v16, v18, v19
	v_div_fmas_f32 v16, v16, v17, v18
	v_div_fixup_f32 v14, v16, v15, v14
	v_fma_f32 v14, v14, v14, 1.0
	v_mul_f32_e32 v16, 0x4f800000, v14
	v_cmp_gt_f32_e32 vcc_lo, 0xf800000, v14
	v_cndmask_b32_e32 v14, v14, v16, vcc_lo
	v_sqrt_f32_e32 v16, v14
	v_add_nc_u32_e32 v17, -1, v16
	v_add_nc_u32_e32 v18, 1, v16
	v_fma_f32 v19, -v17, v16, v14
	v_fma_f32 v20, -v18, v16, v14
	v_cmp_ge_f32_e64 s1, 0, v19
	v_cndmask_b32_e64 v16, v16, v17, s1
	v_cmp_lt_f32_e64 s1, 0, v20
	v_cndmask_b32_e64 v16, v16, v18, s1
	v_mul_f32_e32 v17, 0x37800000, v16
	v_cndmask_b32_e32 v16, v16, v17, vcc_lo
	v_cmp_class_f32_e64 vcc_lo, v14, 0x260
	v_cndmask_b32_e32 v14, v16, v14, vcc_lo
	v_mul_f32_e32 v16, v15, v14
.LBB15_85:                              ;   in Loop: Header=BB15_81 Depth=1
	s_or_b32 exec_lo, exec_lo, s22
                                        ; implicit-def: $vgpr14
                                        ; implicit-def: $vgpr15
.LBB15_86:                              ;   in Loop: Header=BB15_81 Depth=1
	s_andn2_saveexec_b32 s17, s17
	s_cbranch_execz .LBB15_88
; %bb.87:                               ;   in Loop: Header=BB15_81 Depth=1
	v_div_scale_f32 v16, null, v14, v14, v15
	v_div_scale_f32 v19, vcc_lo, v15, v14, v15
	v_rcp_f32_e32 v17, v16
	v_fma_f32 v18, -v16, v17, 1.0
	v_fmac_f32_e32 v17, v18, v17
	v_mul_f32_e32 v18, v19, v17
	v_fma_f32 v20, -v16, v18, v19
	v_fmac_f32_e32 v18, v20, v17
	v_fma_f32 v16, -v16, v18, v19
	v_div_fmas_f32 v16, v16, v17, v18
	v_div_fixup_f32 v15, v16, v14, v15
	v_fma_f32 v15, v15, v15, 1.0
	v_mul_f32_e32 v16, 0x4f800000, v15
	v_cmp_gt_f32_e32 vcc_lo, 0xf800000, v15
	v_cndmask_b32_e32 v15, v15, v16, vcc_lo
	v_sqrt_f32_e32 v16, v15
	v_add_nc_u32_e32 v17, -1, v16
	v_add_nc_u32_e32 v18, 1, v16
	v_fma_f32 v19, -v17, v16, v15
	v_fma_f32 v20, -v18, v16, v15
	v_cmp_ge_f32_e64 s1, 0, v19
	v_cndmask_b32_e64 v16, v16, v17, s1
	v_cmp_lt_f32_e64 s1, 0, v20
	v_cndmask_b32_e64 v16, v16, v18, s1
	v_mul_f32_e32 v17, 0x37800000, v16
	v_cndmask_b32_e32 v16, v16, v17, vcc_lo
	v_cmp_class_f32_e64 vcc_lo, v15, 0x260
	v_cndmask_b32_e32 v15, v16, v15, vcc_lo
	v_mul_f32_e32 v16, v14, v15
.LBB15_88:                              ;   in Loop: Header=BB15_81 Depth=1
	s_or_b32 exec_lo, exec_lo, s17
	v_cvt_f64_f32_e32 v[14:15], v16
	v_cmp_ge_f64_e32 vcc_lo, v[6:7], v[14:15]
	v_cndmask_b32_e64 v15, v11, s28, vcc_lo
	v_cndmask_b32_e64 v14, v10, s25, vcc_lo
	s_and_saveexec_b32 s1, s0
	s_cbranch_execz .LBB15_90
; %bb.89:                               ;   in Loop: Header=BB15_81 Depth=1
	global_store_dwordx2 v[12:13], v[14:15], off
.LBB15_90:                              ;   in Loop: Header=BB15_81 Depth=1
	s_or_b32 exec_lo, exec_lo, s1
	s_mov_b32 s1, 0
	s_mov_b32 s17, -1
.LBB15_91:                              ;   in Loop: Header=BB15_81 Depth=1
	s_and_b32 vcc_lo, exec_lo, s1
	s_cbranch_vccz .LBB15_93
; %bb.92:                               ;   in Loop: Header=BB15_81 Depth=1
	s_waitcnt vmcnt(0)
	v_cmp_neq_f32_e32 vcc_lo, 0, v10
	v_cmp_neq_f32_e64 s1, 0, v11
	s_andn2_b32 s17, s17, exec_lo
	s_mov_b32 s16, -1
	s_or_b32 s1, vcc_lo, s1
	s_and_b32 s1, s1, exec_lo
	s_or_b32 s17, s17, s1
                                        ; implicit-def: $vgpr23
	s_and_saveexec_b32 s1, s17
	s_xor_b32 s17, exec_lo, s1
	s_cbranch_execnz .LBB15_94
	s_branch .LBB15_115
.LBB15_93:                              ;   in Loop: Header=BB15_81 Depth=1
	s_waitcnt vmcnt(0)
	v_mov_b32_e32 v10, v14
	v_mov_b32_e32 v11, v15
                                        ; implicit-def: $vgpr23
	s_and_saveexec_b32 s1, s17
	s_xor_b32 s17, exec_lo, s1
	s_cbranch_execz .LBB15_115
.LBB15_94:                              ;   in Loop: Header=BB15_81 Depth=1
	v_add_nc_u32_e32 v23, 1, v5
	s_mov_b32 s22, exec_lo
	v_add_nc_u32_e32 v12, v23, v0
	v_cmpx_gt_i32_e64 s18, v12
	s_cbranch_execz .LBB15_114
; %bb.95:                               ;   in Loop: Header=BB15_81 Depth=1
	v_mul_f32_e32 v13, v11, v11
	v_cmp_gt_i32_e64 s1, s18, v23
	v_mov_b32_e32 v27, v9
	s_mov_b32 s23, 0
	v_fmac_f32_e32 v13, v10, v10
	v_div_scale_f32 v14, null, v13, v13, 1.0
	v_div_scale_f32 v17, vcc_lo, 1.0, v13, 1.0
	v_rcp_f32_e32 v15, v14
	v_fma_f32 v16, -v14, v15, 1.0
	v_fmac_f32_e32 v15, v16, v15
	v_mul_f32_e32 v16, v17, v15
	v_fma_f32 v18, -v14, v16, v17
	v_fmac_f32_e32 v16, v18, v15
	v_fma_f32 v14, -v14, v16, v17
	v_div_fmas_f32 v14, v14, v15, v16
	v_div_fixup_f32 v26, v14, v13, 1.0
	s_branch .LBB15_97
.LBB15_96:                              ;   in Loop: Header=BB15_97 Depth=2
	s_or_b32 exec_lo, exec_lo, s27
	v_add_nc_u32_e32 v12, 32, v12
	v_add_nc_u32_e32 v27, s10, v27
	v_cmp_le_i32_e32 vcc_lo, s18, v12
	s_or_b32 s23, vcc_lo, s23
	s_andn2_b32 exec_lo, exec_lo, s23
	s_cbranch_execz .LBB15_114
.LBB15_97:                              ;   Parent Loop BB15_81 Depth=1
                                        ; =>  This Loop Header: Depth=2
                                        ;       Child Loop BB15_106 Depth 3
	v_add_nc_u32_e32 v13, v12, v22
	s_and_b32 vcc_lo, exec_lo, s9
	s_cbranch_vccz .LBB15_112
; %bb.98:                               ;   in Loop: Header=BB15_97 Depth=2
	v_add_nc_u32_e32 v14, v12, v22
	s_cbranch_execnz .LBB15_100
.LBB15_99:                              ;   in Loop: Header=BB15_97 Depth=2
	v_add_nc_u32_e32 v14, v12, v21
	v_mad_u64_u32 v[14:15], null, v14, s18, v[5:6]
.LBB15_100:                             ;   in Loop: Header=BB15_97 Depth=2
	v_ashrrev_i32_e32 v15, 31, v14
	v_lshlrev_b64 v[14:15], 3, v[14:15]
	v_add_co_u32 v14, vcc_lo, s12, v14
	v_add_co_ci_u32_e64 v15, null, s13, v15, vcc_lo
	s_and_b32 vcc_lo, exec_lo, s9
	global_load_dwordx2 v[15:16], v[14:15], off
	s_cbranch_vccz .LBB15_113
; %bb.101:                              ;   in Loop: Header=BB15_97 Depth=2
	s_cbranch_execnz .LBB15_103
.LBB15_102:                             ;   in Loop: Header=BB15_97 Depth=2
	v_add_nc_u32_e32 v13, v12, v21
	v_mad_u64_u32 v[13:14], null, v13, s18, v[5:6]
.LBB15_103:                             ;   in Loop: Header=BB15_97 Depth=2
	s_waitcnt vmcnt(0)
	v_mul_f32_e32 v17, v11, v16
	v_mul_f32_e64 v18, v11, -v15
	v_ashrrev_i32_e32 v14, 31, v13
	v_fmac_f32_e32 v17, v15, v10
	v_fmac_f32_e32 v18, v16, v10
	v_lshlrev_b64 v[15:16], 3, v[13:14]
	v_mul_f32_e32 v13, v26, v17
	v_mul_f32_e32 v14, v26, v18
	v_add_co_u32 v15, vcc_lo, s12, v15
	v_add_co_ci_u32_e64 v16, null, s13, v16, vcc_lo
	global_store_dwordx2 v[15:16], v[13:14], off
	s_and_saveexec_b32 s27, s1
	s_cbranch_execz .LBB15_96
; %bb.104:                              ;   in Loop: Header=BB15_97 Depth=2
	v_mov_b32_e32 v28, v27
	v_mov_b32_e32 v29, v8
	;; [unrolled: 1-line block ×3, first 2 shown]
	s_mov_b32 s29, s11
	s_branch .LBB15_106
.LBB15_105:                             ;   in Loop: Header=BB15_106 Depth=3
	v_ashrrev_i32_e32 v20, 31, v19
	s_waitcnt vmcnt(0)
	v_fma_f32 v17, -v13, v15, v17
	v_fma_f32 v15, -v14, v15, v18
	v_add_nc_u32_e32 v30, 1, v30
	v_add_nc_u32_e32 v29, 1, v29
	v_lshlrev_b64 v[19:20], 3, v[19:20]
	v_fmac_f32_e32 v17, v14, v16
	v_fma_f32 v18, -v13, v16, v15
	v_add_nc_u32_e32 v28, 1, v28
	s_add_i32 s29, s29, -1
	s_cmp_eq_u32 s29, 0
	v_add_co_u32 v15, vcc_lo, s12, v19
	v_add_co_ci_u32_e64 v16, null, s13, v20, vcc_lo
	global_store_dwordx2 v[15:16], v[17:18], off
	s_cbranch_scc1 .LBB15_96
.LBB15_106:                             ;   Parent Loop BB15_81 Depth=1
                                        ;     Parent Loop BB15_97 Depth=2
                                        ; =>    This Inner Loop Header: Depth=3
	v_add_nc_u32_e32 v20, v30, v21
	v_mov_b32_e32 v15, v29
	s_andn2_b32 vcc_lo, exec_lo, s9
	s_cbranch_vccnz .LBB15_108
; %bb.107:                              ;   in Loop: Header=BB15_106 Depth=3
	v_mad_u64_u32 v[15:16], null, v20, s18, v[5:6]
.LBB15_108:                             ;   in Loop: Header=BB15_106 Depth=3
	v_ashrrev_i32_e32 v16, 31, v15
	v_mov_b32_e32 v17, v28
	v_lshlrev_b64 v[15:16], 3, v[15:16]
	v_add_co_u32 v15, vcc_lo, s12, v15
	v_add_co_ci_u32_e64 v16, null, s13, v16, vcc_lo
	s_andn2_b32 vcc_lo, exec_lo, s9
	global_load_dwordx2 v[15:16], v[15:16], off
	s_cbranch_vccnz .LBB15_110
; %bb.109:                              ;   in Loop: Header=BB15_106 Depth=3
	v_mad_u64_u32 v[17:18], null, v20, s18, v[12:13]
.LBB15_110:                             ;   in Loop: Header=BB15_106 Depth=3
	v_ashrrev_i32_e32 v18, 31, v17
	v_mov_b32_e32 v19, v28
	v_lshlrev_b64 v[17:18], 3, v[17:18]
	v_add_co_u32 v17, vcc_lo, s12, v17
	v_add_co_ci_u32_e64 v18, null, s13, v18, vcc_lo
	s_andn2_b32 vcc_lo, exec_lo, s9
	global_load_dwordx2 v[17:18], v[17:18], off
	s_cbranch_vccnz .LBB15_105
; %bb.111:                              ;   in Loop: Header=BB15_106 Depth=3
	v_mad_u64_u32 v[19:20], null, v20, s18, v[12:13]
	s_branch .LBB15_105
.LBB15_112:                             ;   in Loop: Header=BB15_97 Depth=2
                                        ; implicit-def: $vgpr14
	s_branch .LBB15_99
.LBB15_113:                             ;   in Loop: Header=BB15_97 Depth=2
                                        ; implicit-def: $vgpr13
	s_branch .LBB15_102
.LBB15_114:                             ;   in Loop: Header=BB15_81 Depth=1
	s_or_b32 exec_lo, exec_lo, s22
	s_andn2_b32 s16, s16, exec_lo
.LBB15_115:                             ;   in Loop: Header=BB15_81 Depth=1
	s_or_b32 exec_lo, exec_lo, s17
	s_andn2_b32 s1, s15, exec_lo
	s_and_b32 s15, s15, exec_lo
	s_or_b32 s15, s1, s15
	s_and_saveexec_b32 s1, s16
	s_cbranch_execz .LBB15_80
; %bb.116:                              ;   in Loop: Header=BB15_81 Depth=1
	v_add_nc_u32_e32 v23, 1, v5
	s_or_b32 s15, s15, exec_lo
	s_branch .LBB15_80
.LBB15_117:
	s_or_b32 exec_lo, exec_lo, s8
	s_andn2_b32 s0, s3, exec_lo
	s_and_b32 s1, s14, exec_lo
	s_or_b32 s3, s0, s1
.LBB15_118:
	s_or_b32 exec_lo, exec_lo, s5
	v_add_nc_u32_e32 v13, 1, v4
	s_mov_b32 s1, exec_lo
	v_cmpx_lt_i32_e64 v13, v24
	s_cbranch_execz .LBB15_142
; %bb.119:
	v_mul_lo_u32 v14, v4, s18
	s_mul_i32 s2, s18, s18
	v_cmp_gt_i32_e64 s0, s18, v0
	v_mul_lo_u32 v6, s2, v13
	s_cmp_lg_u32 s26, 0
	s_mov_b32 s5, 0
	s_cselect_b32 s8, -1, 0
	s_add_i32 s9, s18, 1
	v_mad_u64_u32 v[4:5], null, s18, v14, s[18:19]
	s_add_i32 s10, s18, -1
	v_add3_u32 v15, v6, s18, v0
	s_branch .LBB15_121
.LBB15_120:                             ;   in Loop: Header=BB15_121 Depth=1
	v_add_nc_u32_e32 v13, 1, v13
	v_add_nc_u32_e32 v15, s2, v15
	v_cmp_ge_i32_e32 vcc_lo, v13, v24
	s_or_b32 s5, vcc_lo, s5
	s_andn2_b32 exec_lo, exec_lo, s5
	s_cbranch_execz .LBB15_142
.LBB15_121:                             ; =>This Loop Header: Depth=1
                                        ;     Child Loop BB15_124 Depth 2
                                        ;       Child Loop BB15_127 Depth 3
                                        ;         Child Loop BB15_130 Depth 4
	s_andn2_b32 vcc_lo, exec_lo, s4
	s_cbranch_vccnz .LBB15_120
; %bb.122:                              ;   in Loop: Header=BB15_121 Depth=1
	v_mul_lo_u32 v16, v13, s18
	v_mov_b32_e32 v17, v15
	v_mov_b32_e32 v18, v4
	s_mov_b32 s14, 0
	s_mov_b32 s11, s10
	s_branch .LBB15_124
.LBB15_123:                             ;   in Loop: Header=BB15_124 Depth=2
	s_or_b32 exec_lo, exec_lo, s16
	v_add_nc_u32_e32 v18, s9, v18
	v_add_nc_u32_e32 v17, s18, v17
	s_add_i32 s11, s11, -1
	s_cmp_eq_u32 s15, s18
	s_mov_b32 s14, s15
	s_cbranch_scc1 .LBB15_120
.LBB15_124:                             ;   Parent Loop BB15_121 Depth=1
                                        ; =>  This Loop Header: Depth=2
                                        ;       Child Loop BB15_127 Depth 3
                                        ;         Child Loop BB15_130 Depth 4
	s_add_i32 s15, s14, 1
	s_and_saveexec_b32 s16, s0
	s_cbranch_execz .LBB15_123
; %bb.125:                              ;   in Loop: Header=BB15_124 Depth=2
	v_add_nc_u32_e32 v5, s14, v14
	v_add_nc_u32_e32 v6, s14, v16
	v_mov_b32_e32 v21, v17
	v_mov_b32_e32 v22, v0
	s_cmp_lt_i32 s15, s18
	v_mul_lo_u32 v19, v5, s18
	v_mul_lo_u32 v20, v6, s18
	s_cselect_b32 s17, -1, 0
	s_mov_b32 s22, 0
	s_branch .LBB15_127
.LBB15_126:                             ;   in Loop: Header=BB15_127 Depth=3
	v_add_nc_u32_e32 v22, 32, v22
	v_add_nc_u32_e32 v21, 32, v21
	v_cmp_le_i32_e32 vcc_lo, s18, v22
	s_or_b32 s22, vcc_lo, s22
	s_andn2_b32 exec_lo, exec_lo, s22
	s_cbranch_execz .LBB15_123
.LBB15_127:                             ;   Parent Loop BB15_121 Depth=1
                                        ;     Parent Loop BB15_124 Depth=2
                                        ; =>    This Loop Header: Depth=3
                                        ;         Child Loop BB15_130 Depth 4
	s_andn2_b32 vcc_lo, exec_lo, s17
	s_cbranch_vccnz .LBB15_126
; %bb.128:                              ;   in Loop: Header=BB15_127 Depth=3
	v_add_nc_u32_e32 v5, v22, v16
	v_add_nc_u32_e32 v26, v22, v20
	s_mov_b32 s23, 0
	s_mov_b32 s25, s11
	;; [unrolled: 1-line block ×3, first 2 shown]
	v_mul_lo_u32 v23, v5, s18
	v_add_nc_u32_e32 v25, s14, v23
	s_branch .LBB15_130
.LBB15_129:                             ;   in Loop: Header=BB15_130 Depth=4
	v_ashrrev_i32_e32 v10, 31, v9
	s_waitcnt vmcnt(0)
	v_fma_f32 v11, -v5, v7, v11
	v_fma_f32 v7, -v6, v7, v12
	s_add_i32 s25, s25, -1
	s_add_i32 s26, s26, 1
	v_lshlrev_b64 v[9:10], 3, v[9:10]
	v_fmac_f32_e32 v11, v6, v8
	v_fma_f32 v12, -v5, v8, v7
	s_add_i32 s23, s23, s18
	s_cmp_eq_u32 s25, 0
	v_add_co_u32 v5, vcc_lo, s12, v9
	v_add_co_ci_u32_e64 v6, null, s13, v10, vcc_lo
	global_store_dwordx2 v[5:6], v[11:12], off
	s_cbranch_scc1 .LBB15_126
.LBB15_130:                             ;   Parent Loop BB15_121 Depth=1
                                        ;     Parent Loop BB15_124 Depth=2
                                        ;       Parent Loop BB15_127 Depth=3
                                        ; =>      This Inner Loop Header: Depth=4
	s_and_b32 vcc_lo, exec_lo, s8
	s_cbranch_vccz .LBB15_138
; %bb.131:                              ;   in Loop: Header=BB15_130 Depth=4
	v_add_nc_u32_e32 v5, s26, v19
	v_mov_b32_e32 v7, v25
	s_cbranch_execnz .LBB15_133
.LBB15_132:                             ;   in Loop: Header=BB15_130 Depth=4
	v_add_nc_u32_e32 v5, s23, v18
	v_mov_b32_e32 v7, v26
.LBB15_133:                             ;   in Loop: Header=BB15_130 Depth=4
	v_ashrrev_i32_e32 v6, 31, v5
	v_ashrrev_i32_e32 v8, 31, v7
	v_add_nc_u32_e32 v9, s26, v23
	v_lshlrev_b64 v[5:6], 3, v[5:6]
	v_lshlrev_b64 v[7:8], 3, v[7:8]
	v_add_co_u32 v5, vcc_lo, s12, v5
	v_add_co_ci_u32_e64 v6, null, s13, v6, vcc_lo
	v_add_co_u32 v7, vcc_lo, s12, v7
	v_add_co_ci_u32_e64 v8, null, s13, v8, vcc_lo
	s_clause 0x1
	global_load_dwordx2 v[5:6], v[5:6], off
	global_load_dwordx2 v[7:8], v[7:8], off
	s_and_b32 vcc_lo, exec_lo, s8
	s_cbranch_vccz .LBB15_139
; %bb.134:                              ;   in Loop: Header=BB15_130 Depth=4
	v_add_nc_u32_e32 v10, s26, v23
	v_add_nc_u32_e32 v27, s23, v21
	s_cbranch_execnz .LBB15_136
.LBB15_135:                             ;   in Loop: Header=BB15_130 Depth=4
	v_add_nc_u32_e32 v10, s23, v21
.LBB15_136:                             ;   in Loop: Header=BB15_130 Depth=4
	v_ashrrev_i32_e32 v11, 31, v10
	v_lshlrev_b64 v[10:11], 3, v[10:11]
	v_add_co_u32 v10, vcc_lo, s12, v10
	v_add_co_ci_u32_e64 v11, null, s13, v11, vcc_lo
	s_and_b32 vcc_lo, exec_lo, s8
	global_load_dwordx2 v[11:12], v[10:11], off
	s_cbranch_vccz .LBB15_140
; %bb.137:                              ;   in Loop: Header=BB15_130 Depth=4
	s_cbranch_execnz .LBB15_129
	s_branch .LBB15_141
.LBB15_138:                             ;   in Loop: Header=BB15_130 Depth=4
                                        ; implicit-def: $vgpr5
	v_mov_b32_e32 v7, v25
	s_branch .LBB15_132
.LBB15_139:                             ;   in Loop: Header=BB15_130 Depth=4
                                        ; implicit-def: $vgpr10
	v_add_nc_u32_e32 v27, s23, v21
	s_branch .LBB15_135
.LBB15_140:                             ;   in Loop: Header=BB15_130 Depth=4
                                        ; implicit-def: $vgpr9
.LBB15_141:                             ;   in Loop: Header=BB15_130 Depth=4
	v_mov_b32_e32 v9, v27
	s_branch .LBB15_129
.LBB15_142:
	s_or_b32 exec_lo, exec_lo, s1
	s_orn2_b32 s0, s3, exec_lo
.LBB15_143:
	s_or_b32 exec_lo, exec_lo, s19
	v_cmp_eq_u32_e32 vcc_lo, 0, v0
	s_and_b32 exec_lo, exec_lo, vcc_lo
	s_cbranch_execz .LBB15_149
; %bb.144:
	v_add_co_u32 v2, vcc_lo, s20, v2
	v_add_co_ci_u32_e64 v3, null, s21, v3, vcc_lo
	v_mov_b32_e32 v0, 1
	s_waitcnt_vscnt null, 0x0
	global_store_dword v[2:3], v0, off
	s_and_b32 exec_lo, exec_lo, s0
	s_cbranch_execz .LBB15_149
; %bb.145:
	v_add_nc_u32_e32 v0, s24, v1
	s_mov_b32 s1, exec_lo
	s_brev_b32 s0, -2
.LBB15_146:                             ; =>This Inner Loop Header: Depth=1
	s_ff1_i32_b32 s2, s1
	v_readlane_b32 s3, v0, s2
	s_lshl_b32 s2, 1, s2
	s_andn2_b32 s1, s1, s2
	s_min_i32 s0, s0, s3
	s_cmp_lg_u32 s1, 0
	s_cbranch_scc1 .LBB15_146
; %bb.147:
	v_mbcnt_lo_u32_b32 v0, exec_lo, 0
	s_mov_b32 s1, exec_lo
	v_cmpx_eq_u32_e32 0, v0
	s_xor_b32 s1, exec_lo, s1
	s_cbranch_execz .LBB15_149
; %bb.148:
	v_mov_b32_e32 v0, 0
	v_mov_b32_e32 v1, s0
	global_atomic_smin v0, v1, s[6:7]
.LBB15_149:
	s_endpgm
	.section	.rodata,"a",@progbits
	.p2align	6, 0x0
	.amdhsa_kernel _ZN9rocsparseL15bsrilu0_generalILj128ELj32ELb0E21rocsparse_complex_numIfEEEv20rocsparse_direction_iPKiS5_PT2_S5_iPiS5_S8_21rocsparse_index_base_imNS_24const_host_device_scalarIfEENSA_IdEENSA_IS6_EEb
		.amdhsa_group_segment_fixed_size 0
		.amdhsa_private_segment_fixed_size 0
		.amdhsa_kernarg_size 116
		.amdhsa_user_sgpr_count 6
		.amdhsa_user_sgpr_private_segment_buffer 1
		.amdhsa_user_sgpr_dispatch_ptr 0
		.amdhsa_user_sgpr_queue_ptr 0
		.amdhsa_user_sgpr_kernarg_segment_ptr 1
		.amdhsa_user_sgpr_dispatch_id 0
		.amdhsa_user_sgpr_flat_scratch_init 0
		.amdhsa_user_sgpr_private_segment_size 0
		.amdhsa_wavefront_size32 1
		.amdhsa_uses_dynamic_stack 0
		.amdhsa_system_sgpr_private_segment_wavefront_offset 0
		.amdhsa_system_sgpr_workgroup_id_x 1
		.amdhsa_system_sgpr_workgroup_id_y 0
		.amdhsa_system_sgpr_workgroup_id_z 0
		.amdhsa_system_sgpr_workgroup_info 0
		.amdhsa_system_vgpr_workitem_id 0
		.amdhsa_next_free_vgpr 41
		.amdhsa_next_free_sgpr 45
		.amdhsa_reserve_vcc 1
		.amdhsa_reserve_flat_scratch 0
		.amdhsa_float_round_mode_32 0
		.amdhsa_float_round_mode_16_64 0
		.amdhsa_float_denorm_mode_32 3
		.amdhsa_float_denorm_mode_16_64 3
		.amdhsa_dx10_clamp 1
		.amdhsa_ieee_mode 1
		.amdhsa_fp16_overflow 0
		.amdhsa_workgroup_processor_mode 1
		.amdhsa_memory_ordered 1
		.amdhsa_forward_progress 1
		.amdhsa_shared_vgpr_count 0
		.amdhsa_exception_fp_ieee_invalid_op 0
		.amdhsa_exception_fp_denorm_src 0
		.amdhsa_exception_fp_ieee_div_zero 0
		.amdhsa_exception_fp_ieee_overflow 0
		.amdhsa_exception_fp_ieee_underflow 0
		.amdhsa_exception_fp_ieee_inexact 0
		.amdhsa_exception_int_div_zero 0
	.end_amdhsa_kernel
	.section	.text._ZN9rocsparseL15bsrilu0_generalILj128ELj32ELb0E21rocsparse_complex_numIfEEEv20rocsparse_direction_iPKiS5_PT2_S5_iPiS5_S8_21rocsparse_index_base_imNS_24const_host_device_scalarIfEENSA_IdEENSA_IS6_EEb,"axG",@progbits,_ZN9rocsparseL15bsrilu0_generalILj128ELj32ELb0E21rocsparse_complex_numIfEEEv20rocsparse_direction_iPKiS5_PT2_S5_iPiS5_S8_21rocsparse_index_base_imNS_24const_host_device_scalarIfEENSA_IdEENSA_IS6_EEb,comdat
.Lfunc_end15:
	.size	_ZN9rocsparseL15bsrilu0_generalILj128ELj32ELb0E21rocsparse_complex_numIfEEEv20rocsparse_direction_iPKiS5_PT2_S5_iPiS5_S8_21rocsparse_index_base_imNS_24const_host_device_scalarIfEENSA_IdEENSA_IS6_EEb, .Lfunc_end15-_ZN9rocsparseL15bsrilu0_generalILj128ELj32ELb0E21rocsparse_complex_numIfEEEv20rocsparse_direction_iPKiS5_PT2_S5_iPiS5_S8_21rocsparse_index_base_imNS_24const_host_device_scalarIfEENSA_IdEENSA_IS6_EEb
                                        ; -- End function
	.set _ZN9rocsparseL15bsrilu0_generalILj128ELj32ELb0E21rocsparse_complex_numIfEEEv20rocsparse_direction_iPKiS5_PT2_S5_iPiS5_S8_21rocsparse_index_base_imNS_24const_host_device_scalarIfEENSA_IdEENSA_IS6_EEb.num_vgpr, 41
	.set _ZN9rocsparseL15bsrilu0_generalILj128ELj32ELb0E21rocsparse_complex_numIfEEEv20rocsparse_direction_iPKiS5_PT2_S5_iPiS5_S8_21rocsparse_index_base_imNS_24const_host_device_scalarIfEENSA_IdEENSA_IS6_EEb.num_agpr, 0
	.set _ZN9rocsparseL15bsrilu0_generalILj128ELj32ELb0E21rocsparse_complex_numIfEEEv20rocsparse_direction_iPKiS5_PT2_S5_iPiS5_S8_21rocsparse_index_base_imNS_24const_host_device_scalarIfEENSA_IdEENSA_IS6_EEb.numbered_sgpr, 45
	.set _ZN9rocsparseL15bsrilu0_generalILj128ELj32ELb0E21rocsparse_complex_numIfEEEv20rocsparse_direction_iPKiS5_PT2_S5_iPiS5_S8_21rocsparse_index_base_imNS_24const_host_device_scalarIfEENSA_IdEENSA_IS6_EEb.num_named_barrier, 0
	.set _ZN9rocsparseL15bsrilu0_generalILj128ELj32ELb0E21rocsparse_complex_numIfEEEv20rocsparse_direction_iPKiS5_PT2_S5_iPiS5_S8_21rocsparse_index_base_imNS_24const_host_device_scalarIfEENSA_IdEENSA_IS6_EEb.private_seg_size, 0
	.set _ZN9rocsparseL15bsrilu0_generalILj128ELj32ELb0E21rocsparse_complex_numIfEEEv20rocsparse_direction_iPKiS5_PT2_S5_iPiS5_S8_21rocsparse_index_base_imNS_24const_host_device_scalarIfEENSA_IdEENSA_IS6_EEb.uses_vcc, 1
	.set _ZN9rocsparseL15bsrilu0_generalILj128ELj32ELb0E21rocsparse_complex_numIfEEEv20rocsparse_direction_iPKiS5_PT2_S5_iPiS5_S8_21rocsparse_index_base_imNS_24const_host_device_scalarIfEENSA_IdEENSA_IS6_EEb.uses_flat_scratch, 0
	.set _ZN9rocsparseL15bsrilu0_generalILj128ELj32ELb0E21rocsparse_complex_numIfEEEv20rocsparse_direction_iPKiS5_PT2_S5_iPiS5_S8_21rocsparse_index_base_imNS_24const_host_device_scalarIfEENSA_IdEENSA_IS6_EEb.has_dyn_sized_stack, 0
	.set _ZN9rocsparseL15bsrilu0_generalILj128ELj32ELb0E21rocsparse_complex_numIfEEEv20rocsparse_direction_iPKiS5_PT2_S5_iPiS5_S8_21rocsparse_index_base_imNS_24const_host_device_scalarIfEENSA_IdEENSA_IS6_EEb.has_recursion, 0
	.set _ZN9rocsparseL15bsrilu0_generalILj128ELj32ELb0E21rocsparse_complex_numIfEEEv20rocsparse_direction_iPKiS5_PT2_S5_iPiS5_S8_21rocsparse_index_base_imNS_24const_host_device_scalarIfEENSA_IdEENSA_IS6_EEb.has_indirect_call, 0
	.section	.AMDGPU.csdata,"",@progbits
; Kernel info:
; codeLenInByte = 4736
; TotalNumSgprs: 47
; NumVgprs: 41
; ScratchSize: 0
; MemoryBound: 0
; FloatMode: 240
; IeeeMode: 1
; LDSByteSize: 0 bytes/workgroup (compile time only)
; SGPRBlocks: 0
; VGPRBlocks: 5
; NumSGPRsForWavesPerEU: 47
; NumVGPRsForWavesPerEU: 41
; Occupancy: 16
; WaveLimiterHint : 1
; COMPUTE_PGM_RSRC2:SCRATCH_EN: 0
; COMPUTE_PGM_RSRC2:USER_SGPR: 6
; COMPUTE_PGM_RSRC2:TRAP_HANDLER: 0
; COMPUTE_PGM_RSRC2:TGID_X_EN: 1
; COMPUTE_PGM_RSRC2:TGID_Y_EN: 0
; COMPUTE_PGM_RSRC2:TGID_Z_EN: 0
; COMPUTE_PGM_RSRC2:TIDIG_COMP_CNT: 0
	.section	.text._ZN9rocsparseL11bsrilu0_2_8ILj64ELj64ELj8E21rocsparse_complex_numIfEEEv20rocsparse_direction_iPKiS5_PT2_S5_iPiS5_S8_21rocsparse_index_base_imNS_24const_host_device_scalarIfEENSA_IdEENSA_IS6_EEb,"axG",@progbits,_ZN9rocsparseL11bsrilu0_2_8ILj64ELj64ELj8E21rocsparse_complex_numIfEEEv20rocsparse_direction_iPKiS5_PT2_S5_iPiS5_S8_21rocsparse_index_base_imNS_24const_host_device_scalarIfEENSA_IdEENSA_IS6_EEb,comdat
	.globl	_ZN9rocsparseL11bsrilu0_2_8ILj64ELj64ELj8E21rocsparse_complex_numIfEEEv20rocsparse_direction_iPKiS5_PT2_S5_iPiS5_S8_21rocsparse_index_base_imNS_24const_host_device_scalarIfEENSA_IdEENSA_IS6_EEb ; -- Begin function _ZN9rocsparseL11bsrilu0_2_8ILj64ELj64ELj8E21rocsparse_complex_numIfEEEv20rocsparse_direction_iPKiS5_PT2_S5_iPiS5_S8_21rocsparse_index_base_imNS_24const_host_device_scalarIfEENSA_IdEENSA_IS6_EEb
	.p2align	8
	.type	_ZN9rocsparseL11bsrilu0_2_8ILj64ELj64ELj8E21rocsparse_complex_numIfEEEv20rocsparse_direction_iPKiS5_PT2_S5_iPiS5_S8_21rocsparse_index_base_imNS_24const_host_device_scalarIfEENSA_IdEENSA_IS6_EEb,@function
_ZN9rocsparseL11bsrilu0_2_8ILj64ELj64ELj8E21rocsparse_complex_numIfEEEv20rocsparse_direction_iPKiS5_PT2_S5_iPiS5_S8_21rocsparse_index_base_imNS_24const_host_device_scalarIfEENSA_IdEENSA_IS6_EEb: ; @_ZN9rocsparseL11bsrilu0_2_8ILj64ELj64ELj8E21rocsparse_complex_numIfEEEv20rocsparse_direction_iPKiS5_PT2_S5_iPiS5_S8_21rocsparse_index_base_imNS_24const_host_device_scalarIfEENSA_IdEENSA_IS6_EEb
; %bb.0:
	s_clause 0x2
	s_load_dword s0, s[4:5], 0x70
	s_load_dwordx2 s[24:25], s[4:5], 0x48
	s_load_dwordx8 s[16:23], s[4:5], 0x50
	s_waitcnt lgkmcnt(0)
	s_bitcmp1_b32 s0, 0
	s_cselect_b32 s2, -1, 0
	s_cmp_eq_u32 s25, 0
	s_cselect_b32 s8, -1, 0
	s_cmp_lg_u32 s25, 0
	s_cselect_b32 s3, -1, 0
	s_or_b32 s9, s8, s2
	s_xor_b32 s7, s9, -1
	s_and_b32 s0, s8, exec_lo
	s_cselect_b32 s1, 0, s21
	s_cselect_b32 s0, 0, s20
	s_and_b32 vcc_lo, exec_lo, s9
	s_cbranch_vccnz .LBB16_2
; %bb.1:
	s_load_dword s0, s[18:19], 0x0
	s_waitcnt lgkmcnt(0)
	v_mov_b32_e32 v16, s0
	s_mov_b64 s[0:1], s[20:21]
	v_mov_b32_e32 v3, s1
	v_mov_b32_e32 v2, s0
	s_andn2_b32 vcc_lo, exec_lo, s7
	s_cbranch_vccz .LBB16_3
	s_branch .LBB16_4
.LBB16_2:
	v_cndmask_b32_e64 v16, s18, 0, s8
	v_mov_b32_e32 v3, s1
	v_mov_b32_e32 v2, s0
	s_andn2_b32 vcc_lo, exec_lo, s7
	s_cbranch_vccnz .LBB16_4
.LBB16_3:
	v_mov_b32_e32 v2, s20
	v_mov_b32_e32 v3, s21
	flat_load_dwordx2 v[2:3], v[2:3]
.LBB16_4:
	v_cndmask_b32_e64 v12, 0, 1, s3
	s_mov_b32 s25, 0
	s_andn2_b32 vcc_lo, exec_lo, s3
	s_mov_b32 s33, s25
	s_cbranch_vccnz .LBB16_10
; %bb.5:
	s_xor_b32 s0, s2, -1
	s_mov_b32 s25, s22
	v_cndmask_b32_e64 v4, 0, 1, s0
	s_andn2_b32 vcc_lo, exec_lo, s0
	s_cbranch_vccnz .LBB16_7
; %bb.6:
	s_load_dword s25, s[22:23], 0x0
.LBB16_7:
	v_cmp_ne_u32_e32 vcc_lo, 1, v4
	s_cbranch_vccnz .LBB16_9
; %bb.8:
	s_load_dword s23, s[22:23], 0x4
.LBB16_9:
	s_waitcnt lgkmcnt(0)
	s_mov_b32 s33, s23
.LBB16_10:
	s_clause 0x1
	s_load_dwordx4 s[20:23], s[4:5], 0x30
	s_load_dwordx2 s[18:19], s[4:5], 0x40
	s_mov_b32 s7, 0
	s_lshl_b64 s[0:1], s[6:7], 2
	s_waitcnt lgkmcnt(0)
	s_add_u32 s0, s22, s0
	s_addc_u32 s1, s23, s1
	s_load_dword s22, s[0:1], 0x0
	s_load_dwordx8 s[8:15], s[4:5], 0x8
	s_waitcnt lgkmcnt(0)
	s_ashr_i32 s23, s22, 31
	s_lshl_b64 s[26:27], s[22:23], 2
	s_add_u32 s0, s14, s26
	s_addc_u32 s1, s15, s27
	s_load_dword s28, s[0:1], 0x0
	s_waitcnt lgkmcnt(0)
	s_cmp_eq_u32 s28, -1
	s_cbranch_scc1 .LBB16_90
; %bb.11:
	s_add_u32 s0, s8, s26
	s_addc_u32 s1, s9, s27
	s_load_dword s6, s[4:5], 0x28
	s_load_dwordx2 s[2:3], s[0:1], 0x0
	s_load_dwordx2 s[30:31], s[4:5], 0x0
	v_max_u32_e32 v13, v0, v1
	v_mul_u32_u24_e32 v14, 0x48, v1
	v_lshlrev_b32_e32 v15, 3, v0
	v_add_nc_u32_e32 v11, 1, v1
	s_waitcnt lgkmcnt(0)
	v_cmp_gt_u32_e64 s0, s6, v13
	s_sub_i32 s34, s2, s24
	s_sub_i32 s23, s3, s24
	s_cmp_ge_i32 s34, s28
	s_cbranch_scc1 .LBB16_62
; %bb.12:
	s_cmp_eq_u32 s30, 0
	v_add_nc_u32_e32 v17, 0x240, v15
	s_cselect_b32 vcc_lo, -1, 0
	s_cmp_gt_i32 s6, 0
	v_mad_u32_u24 v18, 0x48, v1, v15
	s_cselect_b32 s29, -1, 0
	s_add_u32 s4, s4, 0x78
	s_addc_u32 s5, s5, 0
	s_add_i32 s31, s31, 1
	s_cmp_lg_u32 s6, 1
	v_mad_u32_u24 v19, 0x48, v1, v17
	v_cmp_eq_u32_e64 s1, 0, v1
	v_add_nc_u32_e32 v20, s34, v0
	v_cndmask_b32_e32 v4, v1, v0, vcc_lo
	v_cndmask_b32_e32 v5, v0, v1, vcc_lo
	s_cselect_b32 s38, -1, 0
	s_and_b32 s39, s6, 0x7ffffffe
	v_add_nc_u32_e32 v21, 1, v1
	v_mad_u32_u24 v22, 0x48, v1, 0x48
	v_add_nc_u32_e32 v23, 0x288, v18
	v_mov_b32_e32 v24, 0
	s_bitcmp1_b32 s6, 0
	s_cselect_b32 s40, -1, 0
	s_branch .LBB16_15
.LBB16_13:                              ;   in Loop: Header=BB16_15 Depth=1
	s_mov_b32 s7, -1
.LBB16_14:                              ;   in Loop: Header=BB16_15 Depth=1
	s_add_i32 s34, s34, 1
	s_cmp_lt_i32 s34, s28
	s_cselect_b32 s3, -1, 0
	s_and_b32 s2, s2, s3
	s_and_b32 vcc_lo, exec_lo, s2
	s_cbranch_vccz .LBB16_62
.LBB16_15:                              ; =>This Loop Header: Depth=1
                                        ;     Child Loop BB16_19 Depth 2
                                        ;     Child Loop BB16_26 Depth 2
                                        ;     Child Loop BB16_46 Depth 2
                                        ;       Child Loop BB16_51 Depth 3
                                        ;       Child Loop BB16_59 Depth 3
	s_ashr_i32 s35, s34, 31
	v_mov_b32_e32 v6, 0
	s_lshl_b64 s[2:3], s[34:35], 2
	s_add_u32 s2, s10, s2
	s_addc_u32 s3, s11, s3
	global_load_dword v7, v24, s[2:3]
	s_waitcnt vmcnt(0)
	v_readfirstlane_b32 s2, v7
	v_mov_b32_e32 v7, 0
	s_and_saveexec_b32 s3, s0
	s_cbranch_execz .LBB16_17
; %bb.16:                               ;   in Loop: Header=BB16_15 Depth=1
	v_mad_u64_u32 v[6:7], null, s34, s6, v[4:5]
	v_mad_u64_u32 v[6:7], null, v6, s6, v[5:6]
	v_mov_b32_e32 v7, v24
	v_lshlrev_b64 v[6:7], 3, v[6:7]
	v_add_co_u32 v6, vcc_lo, s12, v6
	v_add_co_ci_u32_e64 v7, null, s13, v7, vcc_lo
	global_load_dwordx2 v[6:7], v[6:7], off
.LBB16_17:                              ;   in Loop: Header=BB16_15 Depth=1
	s_or_b32 exec_lo, exec_lo, s3
	s_sub_i32 s2, s2, s24
	s_waitcnt vmcnt(0)
	ds_write_b64 v19, v[6:7]
	s_ashr_i32 s3, s2, 31
	s_lshl_b64 s[36:37], s[2:3], 2
	s_add_u32 s2, s14, s36
	s_addc_u32 s3, s15, s37
	global_load_dword v8, v24, s[2:3]
	s_waitcnt vmcnt(0)
	v_cmp_eq_u32_e32 vcc_lo, -1, v8
	v_readfirstlane_b32 s3, v8
	v_cmp_ne_u32_e64 s2, -1, v8
	s_cbranch_vccnz .LBB16_13
; %bb.18:                               ;   in Loop: Header=BB16_15 Depth=1
	s_add_u32 s42, s8, s36
	s_addc_u32 s43, s9, s37
	s_add_u32 s36, s20, s36
	global_load_dword v6, v24, s[42:43] offset:4
	s_addc_u32 s37, s21, s37
	s_waitcnt vmcnt(0)
	v_readfirstlane_b32 s35, v6
.LBB16_19:                              ;   Parent Loop BB16_15 Depth=1
                                        ; =>  This Inner Loop Header: Depth=2
	global_load_dword v6, v24, s[36:37] glc dlc
	s_waitcnt vmcnt(0)
	v_cmp_eq_u32_e32 vcc_lo, 0, v6
	s_cbranch_vccnz .LBB16_19
; %bb.20:                               ;   in Loop: Header=BB16_15 Depth=1
	v_mov_b32_e32 v6, 0
	s_waitcnt lgkmcnt(0)
	buffer_gl1_inv
	buffer_gl0_inv
	v_mov_b32_e32 v7, v6
	s_and_saveexec_b32 s36, s0
	s_cbranch_execz .LBB16_22
; %bb.21:                               ;   in Loop: Header=BB16_15 Depth=1
	v_mad_u64_u32 v[6:7], null, s3, s6, v[4:5]
	v_mad_u64_u32 v[6:7], null, v6, s6, v[5:6]
	v_mov_b32_e32 v7, v24
	v_lshlrev_b64 v[6:7], 3, v[6:7]
	v_add_co_u32 v6, vcc_lo, s12, v6
	v_add_co_ci_u32_e64 v7, null, s13, v7, vcc_lo
	global_load_dwordx2 v[6:7], v[6:7], off
.LBB16_22:                              ;   in Loop: Header=BB16_15 Depth=1
	s_or_b32 exec_lo, exec_lo, s36
	s_andn2_b32 vcc_lo, exec_lo, s29
	s_waitcnt vmcnt(0)
	ds_write_b64 v18, v[6:7]
	s_waitcnt lgkmcnt(0)
	buffer_gl0_inv
	s_cbranch_vccnz .LBB16_40
; %bb.23:                               ;   in Loop: Header=BB16_15 Depth=1
	s_andn2_b32 vcc_lo, exec_lo, s38
	s_mov_b32 s41, 0
	s_cbranch_vccnz .LBB16_34
; %bb.24:                               ;   in Loop: Header=BB16_15 Depth=1
	v_mov_b32_e32 v8, v17
	v_mov_b32_e32 v9, v23
	v_mov_b32_e32 v10, v22
	s_mov_b32 s36, 0
	s_mov_b32 s37, 0
	s_branch .LBB16_26
.LBB16_25:                              ;   in Loop: Header=BB16_26 Depth=2
	s_or_b32 exec_lo, exec_lo, s41
	v_add_nc_u32_e32 v10, 0xa0, v10
	v_add_nc_u32_e32 v9, 0x90, v9
	;; [unrolled: 1-line block ×3, first 2 shown]
	s_add_i32 s37, s37, 2
	s_addk_i32 s36, 0xa0
	s_cmp_eq_u32 s39, s37
	s_mov_b32 s41, s39
	s_waitcnt lgkmcnt(0)
	buffer_gl0_inv
	s_cbranch_scc1 .LBB16_34
.LBB16_26:                              ;   Parent Loop BB16_15 Depth=1
                                        ; =>  This Inner Loop Header: Depth=2
	v_mov_b32_e32 v6, s36
	ds_read_b64 v[6:7], v6
	ds_read_b64 v[25:26], v8
	s_waitcnt lgkmcnt(0)
	buffer_gl0_inv
	v_mul_f32_e32 v27, v7, v7
	v_fmac_f32_e32 v27, v6, v6
	v_div_scale_f32 v28, null, v27, v27, 1.0
	v_div_scale_f32 v31, vcc_lo, 1.0, v27, 1.0
	v_rcp_f32_e32 v29, v28
	v_fma_f32 v30, -v28, v29, 1.0
	v_fmac_f32_e32 v29, v30, v29
	v_mul_f32_e32 v30, v31, v29
	v_fma_f32 v32, -v28, v30, v31
	v_fmac_f32_e32 v30, v32, v29
	v_fma_f32 v28, -v28, v30, v31
	v_mul_f32_e32 v31, v7, v26
	v_mul_f32_e64 v7, v7, -v25
	v_div_fmas_f32 v28, v28, v29, v30
	v_fmac_f32_e32 v31, v25, v6
	v_fmac_f32_e32 v7, v26, v6
	v_div_fixup_f32 v25, v28, v27, 1.0
	v_mul_f32_e32 v6, v25, v31
	v_mul_f32_e32 v7, v25, v7
	s_and_saveexec_b32 s41, s1
; %bb.27:                               ;   in Loop: Header=BB16_26 Depth=2
	ds_write_b64 v8, v[6:7]
; %bb.28:                               ;   in Loop: Header=BB16_26 Depth=2
	s_or_b32 exec_lo, exec_lo, s41
	v_add_nc_u32_e32 v25, s37, v1
	s_mov_b32 s41, exec_lo
	v_add_nc_u32_e32 v26, 1, v25
	v_cmpx_gt_i32_e64 s6, v26
	s_cbranch_execz .LBB16_30
; %bb.29:                               ;   in Loop: Header=BB16_26 Depth=2
	ds_read_b64 v[26:27], v10
	ds_read_b64 v[28:29], v9
	s_waitcnt lgkmcnt(0)
	v_fma_f32 v28, -v6, v26, v28
	v_fma_f32 v26, -v7, v26, v29
	v_fmac_f32_e32 v28, v7, v27
	v_fma_f32 v29, -v6, v27, v26
	ds_write_b64 v9, v[28:29]
.LBB16_30:                              ;   in Loop: Header=BB16_26 Depth=2
	s_or_b32 exec_lo, exec_lo, s41
	v_mov_b32_e32 v6, s36
	s_waitcnt lgkmcnt(0)
	buffer_gl0_inv
	ds_read_b64 v[6:7], v6 offset:80
	ds_read_b64 v[26:27], v8 offset:72
	s_waitcnt lgkmcnt(0)
	buffer_gl0_inv
	v_mul_f32_e32 v28, v7, v7
	v_fmac_f32_e32 v28, v6, v6
	v_div_scale_f32 v29, null, v28, v28, 1.0
	v_div_scale_f32 v32, vcc_lo, 1.0, v28, 1.0
	v_rcp_f32_e32 v30, v29
	v_fma_f32 v31, -v29, v30, 1.0
	v_fmac_f32_e32 v30, v31, v30
	v_mul_f32_e32 v31, v32, v30
	v_fma_f32 v33, -v29, v31, v32
	v_fmac_f32_e32 v31, v33, v30
	v_fma_f32 v29, -v29, v31, v32
	v_mul_f32_e32 v32, v7, v27
	v_mul_f32_e64 v7, v7, -v26
	v_div_fmas_f32 v29, v29, v30, v31
	v_fmac_f32_e32 v32, v26, v6
	v_fmac_f32_e32 v7, v27, v6
	v_div_fixup_f32 v26, v29, v28, 1.0
	v_mul_f32_e32 v6, v26, v32
	v_mul_f32_e32 v7, v26, v7
	s_and_saveexec_b32 s41, s1
; %bb.31:                               ;   in Loop: Header=BB16_26 Depth=2
	ds_write_b64 v8, v[6:7] offset:72
; %bb.32:                               ;   in Loop: Header=BB16_26 Depth=2
	s_or_b32 exec_lo, exec_lo, s41
	v_add_nc_u32_e32 v25, 2, v25
	s_mov_b32 s41, exec_lo
	v_cmpx_gt_i32_e64 s6, v25
	s_cbranch_execz .LBB16_25
; %bb.33:                               ;   in Loop: Header=BB16_26 Depth=2
	ds_read_b64 v[25:26], v10 offset:80
	ds_read_b64 v[27:28], v9 offset:72
	s_waitcnt lgkmcnt(0)
	v_fma_f32 v27, -v6, v25, v27
	v_fma_f32 v25, -v7, v25, v28
	v_fmac_f32_e32 v27, v7, v26
	v_fma_f32 v28, -v6, v26, v25
	ds_write_b64 v9, v[27:28] offset:72
	s_branch .LBB16_25
.LBB16_34:                              ;   in Loop: Header=BB16_15 Depth=1
	s_andn2_b32 vcc_lo, exec_lo, s40
	s_cbranch_vccnz .LBB16_40
; %bb.35:                               ;   in Loop: Header=BB16_15 Depth=1
	s_mul_i32 s36, s41, 0x48
	s_lshl_b32 s37, s41, 3
	v_add_nc_u32_e32 v8, s36, v17
	s_add_i32 s42, s36, s37
	v_mov_b32_e32 v6, s42
	ds_read_b64 v[9:10], v8
	ds_read_b64 v[6:7], v6
	s_waitcnt lgkmcnt(0)
	buffer_gl0_inv
	v_mul_f32_e32 v25, v7, v7
	v_fmac_f32_e32 v25, v6, v6
	v_div_scale_f32 v26, null, v25, v25, 1.0
	v_div_scale_f32 v29, vcc_lo, 1.0, v25, 1.0
	v_rcp_f32_e32 v27, v26
	v_fma_f32 v28, -v26, v27, 1.0
	v_fmac_f32_e32 v27, v28, v27
	v_mul_f32_e32 v28, v29, v27
	v_fma_f32 v30, -v26, v28, v29
	v_fmac_f32_e32 v28, v30, v27
	v_fma_f32 v26, -v26, v28, v29
	v_mul_f32_e32 v29, v7, v10
	v_mul_f32_e64 v7, v7, -v9
	v_div_fmas_f32 v26, v26, v27, v28
	v_fmac_f32_e32 v29, v9, v6
	v_fmac_f32_e32 v7, v10, v6
	v_div_fixup_f32 v9, v26, v25, 1.0
	v_mul_f32_e32 v6, v9, v29
	v_mul_f32_e32 v7, v9, v7
	s_and_saveexec_b32 s42, s1
; %bb.36:                               ;   in Loop: Header=BB16_15 Depth=1
	ds_write_b64 v8, v[6:7]
; %bb.37:                               ;   in Loop: Header=BB16_15 Depth=1
	s_or_b32 exec_lo, exec_lo, s42
	v_add_nc_u32_e32 v9, s41, v21
	s_mov_b32 s41, exec_lo
	v_cmpx_gt_i32_e64 s6, v9
	s_cbranch_execz .LBB16_39
; %bb.38:                               ;   in Loop: Header=BB16_15 Depth=1
	v_mul_u32_u24_e32 v9, 0x48, v1
	v_mad_u32_u24 v10, 0x48, v1, v8
	v_add3_u32 v9, s37, s36, v9
	ds_read_b64 v[8:9], v9 offset:72
	ds_read_b64 v[25:26], v10 offset:72
	s_waitcnt lgkmcnt(0)
	v_fma_f32 v25, -v6, v8, v25
	v_fma_f32 v8, -v7, v8, v26
	v_fmac_f32_e32 v25, v7, v9
	v_fma_f32 v26, -v6, v9, v8
	ds_write_b64 v10, v[25:26] offset:72
.LBB16_39:                              ;   in Loop: Header=BB16_15 Depth=1
	s_or_b32 exec_lo, exec_lo, s41
	s_waitcnt lgkmcnt(0)
	buffer_gl0_inv
.LBB16_40:                              ;   in Loop: Header=BB16_15 Depth=1
	s_and_saveexec_b32 s36, s0
	s_cbranch_execz .LBB16_42
; %bb.41:                               ;   in Loop: Header=BB16_15 Depth=1
	v_mad_u64_u32 v[6:7], null, s34, s6, v[4:5]
	ds_read_b64 v[8:9], v19
	v_mad_u64_u32 v[6:7], null, v6, s6, v[5:6]
	v_mov_b32_e32 v7, v24
	v_lshlrev_b64 v[6:7], 3, v[6:7]
	v_add_co_u32 v6, vcc_lo, s12, v6
	v_add_co_ci_u32_e64 v7, null, s13, v7, vcc_lo
	s_waitcnt lgkmcnt(0)
	global_store_dwordx2 v[6:7], v[8:9], off
.LBB16_42:                              ;   in Loop: Header=BB16_15 Depth=1
	s_or_b32 exec_lo, exec_lo, s36
	s_sub_i32 s35, s35, s24
	s_add_i32 s36, s3, 1
	s_cmp_ge_i32 s36, s35
	s_cbranch_scc1 .LBB16_14
; %bb.43:                               ;   in Loop: Header=BB16_15 Depth=1
	s_load_dword s3, s[4:5], 0xc
	s_waitcnt lgkmcnt(0)
	s_and_b32 s3, s3, 0xffff
	v_mad_u32_u24 v6, v1, s3, v20
	v_ashrrev_i32_e32 v7, 31, v6
	v_cmp_gt_i32_e64 s3, s23, v6
	v_lshlrev_b64 v[7:8], 2, v[6:7]
	v_add_co_u32 v7, vcc_lo, s10, v7
	v_add_co_ci_u32_e64 v8, null, s11, v8, vcc_lo
	s_branch .LBB16_46
.LBB16_44:                              ;   in Loop: Header=BB16_46 Depth=2
	s_or_b32 exec_lo, exec_lo, s37
.LBB16_45:                              ;   in Loop: Header=BB16_46 Depth=2
	s_add_i32 s36, s36, 1
	s_waitcnt_vscnt null, 0x0
	buffer_gl0_inv
	s_cmp_lt_i32 s36, s35
	s_cbranch_scc0 .LBB16_14
.LBB16_46:                              ;   Parent Loop BB16_15 Depth=1
                                        ; =>  This Loop Header: Depth=2
                                        ;       Child Loop BB16_51 Depth 3
                                        ;       Child Loop BB16_59 Depth 3
	s_ashr_i32 s37, s36, 31
	v_mov_b32_e32 v10, s31
	s_lshl_b64 s[42:43], s[36:37], 2
	s_add_u32 s42, s10, s42
	s_addc_u32 s43, s11, s43
	global_load_dword v9, v24, s[42:43]
	s_and_saveexec_b32 s37, s3
	s_cbranch_execz .LBB16_48
; %bb.47:                               ;   in Loop: Header=BB16_46 Depth=2
	global_load_dword v10, v[7:8], off
	s_waitcnt vmcnt(0)
	v_subrev_nc_u32_e32 v10, s24, v10
.LBB16_48:                              ;   in Loop: Header=BB16_46 Depth=2
	s_or_b32 exec_lo, exec_lo, s37
	s_waitcnt vmcnt(0)
	v_subrev_nc_u32_e32 v25, s24, v9
	v_mov_b32_e32 v26, v6
	s_mov_b32 s37, exec_lo
	v_cmpx_lt_i32_e64 v10, v25
	s_cbranch_execz .LBB16_54
; %bb.49:                               ;   in Loop: Header=BB16_46 Depth=2
	v_mov_b32_e32 v9, v6
	s_mov_b32 s41, 0
	s_branch .LBB16_51
	.p2align	6
.LBB16_50:                              ;   in Loop: Header=BB16_51 Depth=3
	s_or_b32 exec_lo, exec_lo, s42
	v_cmp_ge_i32_e32 vcc_lo, v10, v25
	v_mov_b32_e32 v9, v26
	s_or_b32 s41, vcc_lo, s41
	s_andn2_b32 exec_lo, exec_lo, s41
	s_cbranch_execz .LBB16_53
.LBB16_51:                              ;   Parent Loop BB16_15 Depth=1
                                        ;     Parent Loop BB16_46 Depth=2
                                        ; =>    This Inner Loop Header: Depth=3
	v_add_nc_u32_e32 v26, 64, v9
	v_mov_b32_e32 v10, s31
	s_mov_b32 s42, exec_lo
	v_cmpx_gt_i32_e64 s23, v26
	s_cbranch_execz .LBB16_50
; %bb.52:                               ;   in Loop: Header=BB16_51 Depth=3
	v_ashrrev_i32_e32 v10, 31, v9
	v_lshlrev_b64 v[9:10], 2, v[9:10]
	v_add_co_u32 v9, vcc_lo, s10, v9
	v_add_co_ci_u32_e64 v10, null, s11, v10, vcc_lo
	global_load_dword v9, v[9:10], off offset:256
	s_waitcnt vmcnt(0)
	v_subrev_nc_u32_e32 v10, s24, v9
	s_branch .LBB16_50
.LBB16_53:                              ;   in Loop: Header=BB16_46 Depth=2
	s_or_b32 exec_lo, exec_lo, s41
.LBB16_54:                              ;   in Loop: Header=BB16_46 Depth=2
	s_or_b32 exec_lo, exec_lo, s37
	v_cmp_eq_u32_e32 vcc_lo, v10, v25
	s_cbranch_vccz .LBB16_45
; %bb.55:                               ;   in Loop: Header=BB16_46 Depth=2
	s_ff1_i32_b32 s37, vcc_lo
	v_mov_b32_e32 v25, 0
	s_lshl_b32 s37, s37, 2
	v_mov_b32_e32 v10, 0
	v_mov_b32_e32 v9, s37
	ds_bpermute_b32 v26, v9, v26
	v_mov_b32_e32 v9, 0
	s_and_saveexec_b32 s37, s0
	s_cbranch_execz .LBB16_57
; %bb.56:                               ;   in Loop: Header=BB16_46 Depth=2
	v_mad_u64_u32 v[9:10], null, s36, s6, v[4:5]
	v_mad_u64_u32 v[9:10], null, v9, s6, v[5:6]
	v_mov_b32_e32 v10, v24
	v_lshlrev_b64 v[9:10], 3, v[9:10]
	v_add_co_u32 v9, vcc_lo, s12, v9
	v_add_co_ci_u32_e64 v10, null, s13, v10, vcc_lo
	global_load_dwordx2 v[9:10], v[9:10], off
.LBB16_57:                              ;   in Loop: Header=BB16_46 Depth=2
	s_or_b32 exec_lo, exec_lo, s37
	v_mov_b32_e32 v27, 0
	s_andn2_b32 vcc_lo, exec_lo, s29
	s_waitcnt vmcnt(0)
	ds_write_b64 v18, v[9:10]
	s_waitcnt lgkmcnt(0)
	s_waitcnt_vscnt null, 0x0
	buffer_gl0_inv
	s_cbranch_vccnz .LBB16_60
; %bb.58:                               ;   in Loop: Header=BB16_46 Depth=2
	v_mov_b32_e32 v25, 0
	v_mov_b32_e32 v9, v17
	;; [unrolled: 1-line block ×4, first 2 shown]
	s_mov_b32 s37, s6
.LBB16_59:                              ;   Parent Loop BB16_15 Depth=1
                                        ;     Parent Loop BB16_46 Depth=2
                                        ; =>    This Inner Loop Header: Depth=3
	ds_read_b64 v[28:29], v9
	ds_read_b64 v[30:31], v10
	v_add_nc_u32_e32 v10, 8, v10
	v_add_nc_u32_e32 v9, 0x48, v9
	s_add_i32 s37, s37, -1
	s_cmp_eq_u32 s37, 0
	s_waitcnt lgkmcnt(0)
	v_fmac_f32_e32 v25, v28, v30
	v_fmac_f32_e32 v27, v29, v30
	v_fma_f32 v25, -v29, v31, v25
	v_fmac_f32_e32 v27, v28, v31
	s_cbranch_scc0 .LBB16_59
.LBB16_60:                              ;   in Loop: Header=BB16_46 Depth=2
	s_and_saveexec_b32 s37, s0
	s_cbranch_execz .LBB16_44
; %bb.61:                               ;   in Loop: Header=BB16_46 Depth=2
	v_mad_u64_u32 v[9:10], null, v26, s6, v[4:5]
	v_mad_u64_u32 v[9:10], null, v9, s6, v[5:6]
	v_mov_b32_e32 v10, v24
	v_lshlrev_b64 v[9:10], 3, v[9:10]
	v_add_co_u32 v9, vcc_lo, s12, v9
	v_add_co_ci_u32_e64 v10, null, s13, v10, vcc_lo
	global_load_dwordx2 v[28:29], v[9:10], off
	s_waitcnt vmcnt(0)
	v_sub_f32_e32 v25, v28, v25
	v_sub_f32_e32 v26, v29, v27
	global_store_dwordx2 v[9:10], v[25:26], off
	s_branch .LBB16_44
.LBB16_62:
	s_ashr_i32 s29, s28, 31
	v_mov_b32_e32 v5, 0
	s_lshl_b64 s[0:1], s[28:29], 2
	s_add_u32 s0, s10, s0
	s_addc_u32 s1, s11, s1
	global_load_dword v4, v5, s[0:1]
	s_waitcnt vmcnt(0)
	v_subrev_nc_u32_e32 v4, s24, v4
	v_cmp_ne_u32_e32 vcc_lo, s22, v4
	s_cbranch_vccnz .LBB16_94
; %bb.63:
	v_cmp_gt_u32_e64 s0, s6, v13
	v_mov_b32_e32 v4, 0
	s_and_saveexec_b32 s1, s0
	s_cbranch_execz .LBB16_65
; %bb.64:
	s_cmp_eq_u32 s30, 0
	s_cselect_b32 vcc_lo, -1, 0
	v_cndmask_b32_e32 v4, v1, v0, vcc_lo
	v_mad_u64_u32 v[4:5], null, s28, s6, v[4:5]
	v_cndmask_b32_e32 v5, v0, v1, vcc_lo
	v_mad_u64_u32 v[4:5], null, v4, s6, v[5:6]
	v_mov_b32_e32 v5, 0
	v_lshlrev_b64 v[4:5], 3, v[4:5]
	v_add_co_u32 v4, vcc_lo, s12, v4
	v_add_co_ci_u32_e64 v5, null, s13, v5, vcc_lo
	global_load_dwordx2 v[4:5], v[4:5], off
.LBB16_65:
	s_or_b32 exec_lo, exec_lo, s1
	v_mad_u32_u24 v8, 0x48, v1, v15
	s_cmp_lt_i32 s6, 1
	s_waitcnt vmcnt(0)
	ds_write_b64 v8, v[4:5]
	s_waitcnt lgkmcnt(0)
	s_waitcnt_vscnt null, 0x0
	buffer_gl0_inv
	s_cbranch_scc1 .LBB16_91
; %bb.66:
	v_cvt_f64_f32_e32 v[4:5], v16
	v_or_b32_e32 v6, v0, v1
	s_cmp_eq_u64 s[16:17], 8
	v_cmp_eq_u32_e64 s1, 0, v1
	s_cselect_b32 vcc_lo, -1, 0
	v_add3_u32 v9, v14, v15, 0x50
	v_mad_u32_u24 v10, 0x48, v1, 0x48
	v_add_nc_u32_e32 v16, 1, v0
	v_add_nc_u32_e32 v17, 8, v15
	v_cmp_eq_u32_e64 s2, 0, v6
	v_mov_b32_e32 v18, v11
	s_mov_b32 s4, 0
	s_mov_b32 s5, s6
	;; [unrolled: 1-line block ×3, first 2 shown]
	v_cndmask_b32_e32 v3, v5, v3, vcc_lo
	v_cndmask_b32_e32 v2, v4, v2, vcc_lo
.LBB16_67:                              ; =>This Inner Loop Header: Depth=1
	s_waitcnt lgkmcnt(0)
	v_mov_b32_e32 v4, s4
	v_cmp_ne_u32_e32 vcc_lo, 1, v12
	s_mov_b32 s3, 0
	s_mov_b32 s9, -1
                                        ; implicit-def: $vgpr6
	ds_read_b64 v[4:5], v4
	s_cbranch_vccz .LBB16_74
; %bb.68:                               ;   in Loop: Header=BB16_67 Depth=1
	s_and_b32 vcc_lo, exec_lo, s9
	s_mov_b32 s9, 0
	s_cbranch_vccnz .LBB16_82
.LBB16_69:                              ;   in Loop: Header=BB16_67 Depth=1
	s_andn2_b32 vcc_lo, exec_lo, s3
                                        ; implicit-def: $sgpr3
	s_cbranch_vccz .LBB16_83
.LBB16_70:                              ;   in Loop: Header=BB16_67 Depth=1
	s_andn2_b32 vcc_lo, exec_lo, s9
	s_cbranch_vccnz .LBB16_72
.LBB16_71:                              ;   in Loop: Header=BB16_67 Depth=1
	s_add_i32 s3, s8, 1
	s_mov_b32 s7, -1
.LBB16_72:                              ;   in Loop: Header=BB16_67 Depth=1
	v_add_nc_u32_e32 v9, 0x50, v9
	v_add_nc_u32_e32 v10, 0x50, v10
	;; [unrolled: 1-line block ×5, first 2 shown]
	s_add_i32 s5, s5, -1
	s_addk_i32 s4, 0x50
	s_cmp_eq_u32 s5, 0
	s_cbranch_scc1 .LBB16_91
; %bb.73:                               ;   in Loop: Header=BB16_67 Depth=1
	s_mov_b32 s8, s3
	s_branch .LBB16_67
.LBB16_74:                              ;   in Loop: Header=BB16_67 Depth=1
	s_waitcnt lgkmcnt(0)
	v_cmp_gt_f32_e32 vcc_lo, 0, v4
	v_cndmask_b32_e64 v6, v4, -v4, vcc_lo
	v_cmp_gt_f32_e32 vcc_lo, 0, v5
	v_cndmask_b32_e64 v7, v5, -v5, vcc_lo
	v_cmp_ngt_f32_e32 vcc_lo, v6, v7
	s_cbranch_vccz .LBB16_77
; %bb.75:                               ;   in Loop: Header=BB16_67 Depth=1
	v_cmp_eq_f32_e32 vcc_lo, 0, v5
	s_cbranch_vccnz .LBB16_89
; %bb.76:                               ;   in Loop: Header=BB16_67 Depth=1
	v_div_scale_f32 v19, null, v7, v7, v6
	v_div_scale_f32 v22, vcc_lo, v6, v7, v6
	v_rcp_f32_e32 v20, v19
	v_fma_f32 v21, -v19, v20, 1.0
	v_fmac_f32_e32 v20, v21, v20
	v_mul_f32_e32 v21, v22, v20
	v_fma_f32 v23, -v19, v21, v22
	v_fmac_f32_e32 v21, v23, v20
	v_fma_f32 v19, -v19, v21, v22
	v_div_fmas_f32 v19, v19, v20, v21
	v_div_fixup_f32 v19, v19, v7, v6
	v_fma_f32 v19, v19, v19, 1.0
	v_mul_f32_e32 v20, 0x4f800000, v19
	v_cmp_gt_f32_e32 vcc_lo, 0xf800000, v19
	v_cndmask_b32_e32 v19, v19, v20, vcc_lo
	v_sqrt_f32_e32 v20, v19
	v_add_nc_u32_e32 v21, -1, v20
	v_add_nc_u32_e32 v22, 1, v20
	v_fma_f32 v23, -v21, v20, v19
	v_fma_f32 v24, -v22, v20, v19
	v_cmp_ge_f32_e64 s3, 0, v23
	v_cndmask_b32_e64 v20, v20, v21, s3
	v_cmp_lt_f32_e64 s3, 0, v24
	v_cndmask_b32_e64 v20, v20, v22, s3
	v_mul_f32_e32 v21, 0x37800000, v20
	v_cndmask_b32_e32 v20, v20, v21, vcc_lo
	v_cmp_class_f32_e64 vcc_lo, v19, 0x260
	v_cndmask_b32_e32 v19, v20, v19, vcc_lo
	v_mul_f32_e32 v19, v7, v19
	s_cbranch_execz .LBB16_78
	s_branch .LBB16_79
.LBB16_77:                              ;   in Loop: Header=BB16_67 Depth=1
                                        ; implicit-def: $vgpr19
.LBB16_78:                              ;   in Loop: Header=BB16_67 Depth=1
	v_div_scale_f32 v19, null, v6, v6, v7
	v_div_scale_f32 v22, vcc_lo, v7, v6, v7
	v_rcp_f32_e32 v20, v19
	v_fma_f32 v21, -v19, v20, 1.0
	v_fmac_f32_e32 v20, v21, v20
	v_mul_f32_e32 v21, v22, v20
	v_fma_f32 v23, -v19, v21, v22
	v_fmac_f32_e32 v21, v23, v20
	v_fma_f32 v19, -v19, v21, v22
	v_div_fmas_f32 v19, v19, v20, v21
	v_div_fixup_f32 v7, v19, v6, v7
	v_fma_f32 v7, v7, v7, 1.0
	v_mul_f32_e32 v19, 0x4f800000, v7
	v_cmp_gt_f32_e32 vcc_lo, 0xf800000, v7
	v_cndmask_b32_e32 v7, v7, v19, vcc_lo
	v_sqrt_f32_e32 v19, v7
	v_add_nc_u32_e32 v20, -1, v19
	v_add_nc_u32_e32 v21, 1, v19
	v_fma_f32 v22, -v20, v19, v7
	v_fma_f32 v23, -v21, v19, v7
	v_cmp_ge_f32_e64 s3, 0, v22
	v_cndmask_b32_e64 v19, v19, v20, s3
	v_cmp_lt_f32_e64 s3, 0, v23
	v_cndmask_b32_e64 v19, v19, v21, s3
	v_mul_f32_e32 v20, 0x37800000, v19
	v_cndmask_b32_e32 v19, v19, v20, vcc_lo
	v_cmp_class_f32_e64 vcc_lo, v7, 0x260
	v_cndmask_b32_e32 v7, v19, v7, vcc_lo
	v_mul_f32_e32 v19, v6, v7
.LBB16_79:                              ;   in Loop: Header=BB16_67 Depth=1
	v_cvt_f64_f32_e32 v[6:7], v19
	buffer_gl0_inv
	v_cmp_ge_f64_e32 vcc_lo, v[2:3], v[6:7]
	v_cndmask_b32_e64 v7, v5, s33, vcc_lo
	v_cndmask_b32_e64 v6, v4, s25, vcc_lo
	s_and_saveexec_b32 s3, s2
; %bb.80:                               ;   in Loop: Header=BB16_67 Depth=1
	v_mov_b32_e32 v19, s4
	ds_write_b64 v19, v[6:7]
; %bb.81:                               ;   in Loop: Header=BB16_67 Depth=1
	s_or_b32 exec_lo, exec_lo, s3
	s_mov_b32 s3, -1
	s_mov_b32 s9, 0
	s_branch .LBB16_69
.LBB16_82:                              ;   in Loop: Header=BB16_67 Depth=1
	s_waitcnt lgkmcnt(0)
	v_cmp_neq_f32_e32 vcc_lo, 0, v4
	v_cmp_neq_f32_e64 s3, 0, v5
	v_mov_b32_e32 v6, v4
	v_mov_b32_e32 v7, v5
	s_mov_b32 s9, -1
	s_or_b32 s3, vcc_lo, s3
	s_andn2_b32 vcc_lo, exec_lo, s3
                                        ; implicit-def: $sgpr3
	s_cbranch_vccnz .LBB16_70
.LBB16_83:                              ;   in Loop: Header=BB16_67 Depth=1
	s_mov_b32 s3, exec_lo
	v_cmpx_gt_i32_e64 s6, v16
	s_cbranch_execz .LBB16_88
; %bb.84:                               ;   in Loop: Header=BB16_67 Depth=1
	v_mul_f32_e32 v19, v7, v7
	v_fmac_f32_e32 v19, v6, v6
	v_div_scale_f32 v20, null, v19, v19, 1.0
	v_div_scale_f32 v22, vcc_lo, 1.0, v19, 1.0
	v_rcp_f32_e32 v21, v20
	s_waitcnt lgkmcnt(0)
	v_fma_f32 v4, -v20, v21, 1.0
	v_fmac_f32_e32 v21, v4, v21
	ds_read_b64 v[4:5], v17
	s_waitcnt lgkmcnt(0)
	buffer_gl0_inv
	v_mul_f32_e32 v23, v22, v21
	v_fma_f32 v24, -v20, v23, v22
	v_fmac_f32_e32 v23, v24, v21
	v_fma_f32 v20, -v20, v23, v22
	v_mul_f32_e32 v22, v7, v5
	v_mul_f32_e64 v7, v7, -v4
	v_div_fmas_f32 v20, v20, v21, v23
	v_fmac_f32_e32 v22, v4, v6
	v_fmac_f32_e32 v7, v5, v6
	v_div_fixup_f32 v19, v20, v19, 1.0
	v_mul_f32_e32 v4, v19, v22
	v_mul_f32_e32 v5, v19, v7
	s_and_saveexec_b32 s9, s1
; %bb.85:                               ;   in Loop: Header=BB16_67 Depth=1
	ds_write_b64 v17, v[4:5]
; %bb.86:                               ;   in Loop: Header=BB16_67 Depth=1
	s_or_b32 exec_lo, exec_lo, s9
	v_cmp_gt_i32_e32 vcc_lo, s6, v18
	s_and_b32 exec_lo, exec_lo, vcc_lo
	s_cbranch_execz .LBB16_88
; %bb.87:                               ;   in Loop: Header=BB16_67 Depth=1
	ds_read_b64 v[6:7], v10
	ds_read_b64 v[19:20], v9
	s_waitcnt lgkmcnt(0)
	v_fma_f32 v19, -v4, v6, v19
	v_fma_f32 v6, -v5, v6, v20
	v_fmac_f32_e32 v19, v5, v7
	v_fma_f32 v20, -v4, v7, v6
	ds_write_b64 v9, v[19:20]
.LBB16_88:                              ;   in Loop: Header=BB16_67 Depth=1
	s_or_b32 exec_lo, exec_lo, s3
	s_add_i32 s3, s8, 1
	s_cbranch_execz .LBB16_71
	s_branch .LBB16_72
.LBB16_89:                              ;   in Loop: Header=BB16_67 Depth=1
	v_mov_b32_e32 v19, 0
	s_cbranch_execz .LBB16_78
	s_branch .LBB16_79
.LBB16_90:
	s_mov_b32 s7, -1
	s_branch .LBB16_118
.LBB16_91:
	s_waitcnt lgkmcnt(0)
	buffer_gl0_inv
	s_and_saveexec_b32 s1, s0
	s_cbranch_execz .LBB16_93
; %bb.92:
	s_cmp_eq_u32 s30, 0
	s_cselect_b32 vcc_lo, -1, 0
	v_cndmask_b32_e32 v2, v1, v0, vcc_lo
	v_mad_u64_u32 v[2:3], null, s28, s6, v[2:3]
	v_cndmask_b32_e32 v3, v0, v1, vcc_lo
	v_mad_u64_u32 v[2:3], null, v2, s6, v[3:4]
	ds_read_b64 v[4:5], v8
	v_mov_b32_e32 v3, 0
	v_lshlrev_b64 v[2:3], 3, v[2:3]
	v_add_co_u32 v2, vcc_lo, s12, v2
	v_add_co_ci_u32_e64 v3, null, s13, v3, vcc_lo
	s_waitcnt lgkmcnt(0)
	global_store_dwordx2 v[2:3], v[4:5], off
.LBB16_93:
	s_or_b32 exec_lo, exec_lo, s1
.LBB16_94:
	s_add_i32 s1, s28, 1
	s_cmp_ge_i32 s1, s23
	s_cbranch_scc1 .LBB16_118
; %bb.95:
	s_cmp_eq_u32 s30, 0
	v_lshlrev_b32_e32 v8, 3, v1
	s_cselect_b32 vcc_lo, -1, 0
	s_cmp_gt_i32 s6, 0
	v_mul_u32_u24_e32 v5, 0x48, v0
	s_cselect_b32 s2, -1, 0
	s_add_i32 s4, s6, -1
	s_and_b32 s3, s6, 3
	s_movk_i32 s8, 0x240
	s_cmp_gt_u32 s4, 2
	v_add3_u32 v7, v14, v15, 0x240
	v_cmp_gt_u32_e64 s0, s6, v13
	v_cndmask_b32_e32 v2, v1, v0, vcc_lo
	v_cndmask_b32_e32 v3, v0, v1, vcc_lo
	s_cselect_b32 s4, -1, 0
	s_and_b32 s5, s6, 0x7ffffffc
	v_mad_u32_u24 v9, 0x48, v0, s8
	v_add_nc_u32_e32 v4, 8, v8
	v_add3_u32 v10, v5, v8, 0x248
	v_mov_b32_e32 v12, 0
	s_cmp_lg_u32 s3, 0
	s_cselect_b32 s8, -1, 0
	s_branch .LBB16_97
.LBB16_96:                              ;   in Loop: Header=BB16_97 Depth=1
	s_or_b32 exec_lo, exec_lo, s9
	s_add_i32 s1, s1, 1
	s_cmp_lt_i32 s1, s23
	s_cbranch_scc0 .LBB16_118
.LBB16_97:                              ; =>This Loop Header: Depth=1
                                        ;     Child Loop BB16_103 Depth 2
                                        ;     Child Loop BB16_114 Depth 2
	v_mov_b32_e32 v6, 0
	v_mov_b32_e32 v5, 0
	s_waitcnt lgkmcnt(0)
	s_waitcnt_vscnt null, 0x0
	buffer_gl0_inv
	s_and_saveexec_b32 s9, s0
	s_cbranch_execz .LBB16_99
; %bb.98:                               ;   in Loop: Header=BB16_97 Depth=1
	v_mad_u64_u32 v[5:6], null, s1, s6, v[2:3]
	v_mad_u64_u32 v[5:6], null, v5, s6, v[3:4]
	v_mov_b32_e32 v6, v12
	v_lshlrev_b64 v[5:6], 3, v[5:6]
	v_add_co_u32 v5, vcc_lo, s12, v5
	v_add_co_ci_u32_e64 v6, null, s13, v6, vcc_lo
	global_load_dwordx2 v[5:6], v[5:6], off
.LBB16_99:                              ;   in Loop: Header=BB16_97 Depth=1
	s_or_b32 exec_lo, exec_lo, s9
	s_andn2_b32 vcc_lo, exec_lo, s2
	s_waitcnt vmcnt(0)
	ds_write_b64 v7, v[5:6]
	s_waitcnt lgkmcnt(0)
	buffer_gl0_inv
	s_cbranch_vccnz .LBB16_116
; %bb.100:                              ;   in Loop: Header=BB16_97 Depth=1
	s_andn2_b32 vcc_lo, exec_lo, s4
	s_mov_b32 s11, 0
	s_cbranch_vccnz .LBB16_111
; %bb.101:                              ;   in Loop: Header=BB16_97 Depth=1
	v_mov_b32_e32 v5, v9
	s_mov_b32 s9, 0
	s_mov_b32 s10, 8
	s_branch .LBB16_103
.LBB16_102:                             ;   in Loop: Header=BB16_103 Depth=2
	s_or_b32 exec_lo, exec_lo, s11
	v_add_nc_u32_e32 v5, 32, v5
	s_add_i32 s9, s9, 4
	s_addk_i32 s10, 0x140
	s_cmp_eq_u32 s5, s9
	s_mov_b32 s11, s5
	s_cbranch_scc1 .LBB16_111
.LBB16_103:                             ;   Parent Loop BB16_97 Depth=1
                                        ; =>  This Inner Loop Header: Depth=2
	v_add_nc_u32_e32 v14, s9, v1
	v_add_nc_u32_e32 v13, s10, v8
	;; [unrolled: 1-line block ×3, first 2 shown]
	v_cmp_gt_i32_e32 vcc_lo, s6, v6
	v_add_nc_u32_e32 v6, v5, v8
	s_and_saveexec_b32 s11, vcc_lo
	s_cbranch_execz .LBB16_105
; %bb.104:                              ;   in Loop: Header=BB16_103 Depth=2
	ds_read_b64 v[15:16], v13
	ds_read_b64 v[17:18], v5
	ds_read_b64 v[19:20], v6 offset:8
	s_waitcnt lgkmcnt(0)
	v_fma_f32 v19, -v15, v17, v19
	v_fma_f32 v17, -v16, v17, v20
	v_fmac_f32_e32 v19, v16, v18
	v_fma_f32 v20, -v15, v18, v17
	ds_write_b64 v6, v[19:20] offset:8
.LBB16_105:                             ;   in Loop: Header=BB16_103 Depth=2
	s_or_b32 exec_lo, exec_lo, s11
	v_add_nc_u32_e32 v15, 2, v14
	s_mov_b32 s11, exec_lo
	v_cmpx_gt_i32_e64 s6, v15
	s_cbranch_execz .LBB16_107
; %bb.106:                              ;   in Loop: Header=BB16_103 Depth=2
	ds_read_b64 v[15:16], v13 offset:80
	ds_read_b64 v[17:18], v5 offset:8
	;; [unrolled: 1-line block ×3, first 2 shown]
	s_waitcnt lgkmcnt(0)
	v_fma_f32 v19, -v15, v17, v19
	v_fma_f32 v17, -v16, v17, v20
	v_fmac_f32_e32 v19, v16, v18
	v_fma_f32 v20, -v15, v18, v17
	ds_write_b64 v6, v[19:20] offset:16
.LBB16_107:                             ;   in Loop: Header=BB16_103 Depth=2
	s_or_b32 exec_lo, exec_lo, s11
	v_add_nc_u32_e32 v15, 3, v14
	s_mov_b32 s11, exec_lo
	v_cmpx_gt_i32_e64 s6, v15
	s_cbranch_execz .LBB16_109
; %bb.108:                              ;   in Loop: Header=BB16_103 Depth=2
	ds_read_b64 v[15:16], v13 offset:160
	ds_read_b64 v[17:18], v5 offset:16
	;; [unrolled: 1-line block ×3, first 2 shown]
	s_waitcnt lgkmcnt(0)
	v_fma_f32 v19, -v15, v17, v19
	v_fma_f32 v17, -v16, v17, v20
	v_fmac_f32_e32 v19, v16, v18
	v_fma_f32 v20, -v15, v18, v17
	ds_write_b64 v6, v[19:20] offset:24
.LBB16_109:                             ;   in Loop: Header=BB16_103 Depth=2
	s_or_b32 exec_lo, exec_lo, s11
	v_add_nc_u32_e32 v14, 4, v14
	s_mov_b32 s11, exec_lo
	v_cmpx_gt_i32_e64 s6, v14
	s_cbranch_execz .LBB16_102
; %bb.110:                              ;   in Loop: Header=BB16_103 Depth=2
	ds_read_b64 v[13:14], v13 offset:240
	ds_read_b64 v[15:16], v5 offset:24
	;; [unrolled: 1-line block ×3, first 2 shown]
	s_waitcnt lgkmcnt(0)
	v_fma_f32 v17, -v13, v15, v17
	v_fma_f32 v15, -v14, v15, v18
	v_fmac_f32_e32 v17, v14, v16
	v_fma_f32 v18, -v13, v16, v15
	ds_write_b64 v6, v[17:18] offset:32
	s_branch .LBB16_102
.LBB16_111:                             ;   in Loop: Header=BB16_97 Depth=1
	s_andn2_b32 vcc_lo, exec_lo, s8
	s_cbranch_vccnz .LBB16_116
; %bb.112:                              ;   in Loop: Header=BB16_97 Depth=1
	v_mad_u64_u32 v[5:6], null, 0x50, s11, v[4:5]
	s_lshl_b32 s9, s11, 3
	v_add_nc_u32_e32 v14, s11, v11
	v_add_nc_u32_e32 v6, s9, v10
	;; [unrolled: 1-line block ×3, first 2 shown]
	s_mov_b32 s9, s3
	s_inst_prefetch 0x1
	s_branch .LBB16_114
	.p2align	6
.LBB16_113:                             ;   in Loop: Header=BB16_114 Depth=2
	s_or_b32 exec_lo, exec_lo, s10
	v_add_nc_u32_e32 v5, 0x50, v5
	v_add_nc_u32_e32 v6, 8, v6
	v_add_nc_u32_e32 v13, 8, v13
	v_add_nc_u32_e32 v14, 1, v14
	s_add_i32 s9, s9, -1
	s_cmp_lg_u32 s9, 0
	s_cbranch_scc0 .LBB16_116
.LBB16_114:                             ;   Parent Loop BB16_97 Depth=1
                                        ; =>  This Inner Loop Header: Depth=2
	s_mov_b32 s10, exec_lo
	v_cmpx_gt_i32_e64 s6, v14
	s_cbranch_execz .LBB16_113
; %bb.115:                              ;   in Loop: Header=BB16_114 Depth=2
	ds_read_b64 v[15:16], v5
	ds_read_b64 v[17:18], v13
	;; [unrolled: 1-line block ×3, first 2 shown]
	s_waitcnt lgkmcnt(0)
	v_fma_f32 v19, -v15, v17, v19
	v_fma_f32 v17, -v16, v17, v20
	v_fmac_f32_e32 v19, v16, v18
	v_fma_f32 v20, -v15, v18, v17
	ds_write_b64 v6, v[19:20]
	s_branch .LBB16_113
.LBB16_116:                             ;   in Loop: Header=BB16_97 Depth=1
	s_inst_prefetch 0x2
	s_waitcnt lgkmcnt(0)
	buffer_gl0_inv
	s_and_saveexec_b32 s9, s0
	s_cbranch_execz .LBB16_96
; %bb.117:                              ;   in Loop: Header=BB16_97 Depth=1
	v_mad_u64_u32 v[5:6], null, s1, s6, v[2:3]
	ds_read_b64 v[13:14], v7
	v_mad_u64_u32 v[5:6], null, v5, s6, v[3:4]
	v_mov_b32_e32 v6, v12
	v_lshlrev_b64 v[5:6], 3, v[5:6]
	v_add_co_u32 v5, vcc_lo, s12, v5
	v_add_co_ci_u32_e64 v6, null, s13, v6, vcc_lo
	s_waitcnt lgkmcnt(0)
	global_store_dwordx2 v[5:6], v[13:14], off
	s_branch .LBB16_96
.LBB16_118:
	v_or_b32_e32 v0, v0, v1
	s_mov_b32 s0, exec_lo
	v_cmpx_eq_u32_e32 0, v0
	s_cbranch_execz .LBB16_122
; %bb.119:
	v_mov_b32_e32 v0, 0
	v_mov_b32_e32 v1, 1
	s_add_u32 s0, s20, s26
	s_addc_u32 s1, s21, s27
	s_andn2_b32 vcc_lo, exec_lo, s7
	s_waitcnt vmcnt(0) lgkmcnt(0)
	s_waitcnt_vscnt null, 0x0
	global_store_dword v0, v1, s[0:1]
	s_cbranch_vccnz .LBB16_122
; %bb.120:
	v_mbcnt_lo_u32_b32 v0, exec_lo, 0
	v_cmp_eq_u32_e32 vcc_lo, 0, v0
	s_and_b32 exec_lo, exec_lo, vcc_lo
	s_cbranch_execz .LBB16_122
; %bb.121:
	s_add_i32 s0, s22, s24
	v_mov_b32_e32 v0, 0
	v_mov_b32_e32 v1, s0
	global_atomic_smin v0, v1, s[18:19]
.LBB16_122:
	s_endpgm
	.section	.rodata,"a",@progbits
	.p2align	6, 0x0
	.amdhsa_kernel _ZN9rocsparseL11bsrilu0_2_8ILj64ELj64ELj8E21rocsparse_complex_numIfEEEv20rocsparse_direction_iPKiS5_PT2_S5_iPiS5_S8_21rocsparse_index_base_imNS_24const_host_device_scalarIfEENSA_IdEENSA_IS6_EEb
		.amdhsa_group_segment_fixed_size 1152
		.amdhsa_private_segment_fixed_size 0
		.amdhsa_kernarg_size 376
		.amdhsa_user_sgpr_count 6
		.amdhsa_user_sgpr_private_segment_buffer 1
		.amdhsa_user_sgpr_dispatch_ptr 0
		.amdhsa_user_sgpr_queue_ptr 0
		.amdhsa_user_sgpr_kernarg_segment_ptr 1
		.amdhsa_user_sgpr_dispatch_id 0
		.amdhsa_user_sgpr_flat_scratch_init 0
		.amdhsa_user_sgpr_private_segment_size 0
		.amdhsa_wavefront_size32 1
		.amdhsa_uses_dynamic_stack 0
		.amdhsa_system_sgpr_private_segment_wavefront_offset 0
		.amdhsa_system_sgpr_workgroup_id_x 1
		.amdhsa_system_sgpr_workgroup_id_y 0
		.amdhsa_system_sgpr_workgroup_id_z 0
		.amdhsa_system_sgpr_workgroup_info 0
		.amdhsa_system_vgpr_workitem_id 1
		.amdhsa_next_free_vgpr 34
		.amdhsa_next_free_sgpr 44
		.amdhsa_reserve_vcc 1
		.amdhsa_reserve_flat_scratch 0
		.amdhsa_float_round_mode_32 0
		.amdhsa_float_round_mode_16_64 0
		.amdhsa_float_denorm_mode_32 3
		.amdhsa_float_denorm_mode_16_64 3
		.amdhsa_dx10_clamp 1
		.amdhsa_ieee_mode 1
		.amdhsa_fp16_overflow 0
		.amdhsa_workgroup_processor_mode 1
		.amdhsa_memory_ordered 1
		.amdhsa_forward_progress 1
		.amdhsa_shared_vgpr_count 0
		.amdhsa_exception_fp_ieee_invalid_op 0
		.amdhsa_exception_fp_denorm_src 0
		.amdhsa_exception_fp_ieee_div_zero 0
		.amdhsa_exception_fp_ieee_overflow 0
		.amdhsa_exception_fp_ieee_underflow 0
		.amdhsa_exception_fp_ieee_inexact 0
		.amdhsa_exception_int_div_zero 0
	.end_amdhsa_kernel
	.section	.text._ZN9rocsparseL11bsrilu0_2_8ILj64ELj64ELj8E21rocsparse_complex_numIfEEEv20rocsparse_direction_iPKiS5_PT2_S5_iPiS5_S8_21rocsparse_index_base_imNS_24const_host_device_scalarIfEENSA_IdEENSA_IS6_EEb,"axG",@progbits,_ZN9rocsparseL11bsrilu0_2_8ILj64ELj64ELj8E21rocsparse_complex_numIfEEEv20rocsparse_direction_iPKiS5_PT2_S5_iPiS5_S8_21rocsparse_index_base_imNS_24const_host_device_scalarIfEENSA_IdEENSA_IS6_EEb,comdat
.Lfunc_end16:
	.size	_ZN9rocsparseL11bsrilu0_2_8ILj64ELj64ELj8E21rocsparse_complex_numIfEEEv20rocsparse_direction_iPKiS5_PT2_S5_iPiS5_S8_21rocsparse_index_base_imNS_24const_host_device_scalarIfEENSA_IdEENSA_IS6_EEb, .Lfunc_end16-_ZN9rocsparseL11bsrilu0_2_8ILj64ELj64ELj8E21rocsparse_complex_numIfEEEv20rocsparse_direction_iPKiS5_PT2_S5_iPiS5_S8_21rocsparse_index_base_imNS_24const_host_device_scalarIfEENSA_IdEENSA_IS6_EEb
                                        ; -- End function
	.set _ZN9rocsparseL11bsrilu0_2_8ILj64ELj64ELj8E21rocsparse_complex_numIfEEEv20rocsparse_direction_iPKiS5_PT2_S5_iPiS5_S8_21rocsparse_index_base_imNS_24const_host_device_scalarIfEENSA_IdEENSA_IS6_EEb.num_vgpr, 34
	.set _ZN9rocsparseL11bsrilu0_2_8ILj64ELj64ELj8E21rocsparse_complex_numIfEEEv20rocsparse_direction_iPKiS5_PT2_S5_iPiS5_S8_21rocsparse_index_base_imNS_24const_host_device_scalarIfEENSA_IdEENSA_IS6_EEb.num_agpr, 0
	.set _ZN9rocsparseL11bsrilu0_2_8ILj64ELj64ELj8E21rocsparse_complex_numIfEEEv20rocsparse_direction_iPKiS5_PT2_S5_iPiS5_S8_21rocsparse_index_base_imNS_24const_host_device_scalarIfEENSA_IdEENSA_IS6_EEb.numbered_sgpr, 44
	.set _ZN9rocsparseL11bsrilu0_2_8ILj64ELj64ELj8E21rocsparse_complex_numIfEEEv20rocsparse_direction_iPKiS5_PT2_S5_iPiS5_S8_21rocsparse_index_base_imNS_24const_host_device_scalarIfEENSA_IdEENSA_IS6_EEb.num_named_barrier, 0
	.set _ZN9rocsparseL11bsrilu0_2_8ILj64ELj64ELj8E21rocsparse_complex_numIfEEEv20rocsparse_direction_iPKiS5_PT2_S5_iPiS5_S8_21rocsparse_index_base_imNS_24const_host_device_scalarIfEENSA_IdEENSA_IS6_EEb.private_seg_size, 0
	.set _ZN9rocsparseL11bsrilu0_2_8ILj64ELj64ELj8E21rocsparse_complex_numIfEEEv20rocsparse_direction_iPKiS5_PT2_S5_iPiS5_S8_21rocsparse_index_base_imNS_24const_host_device_scalarIfEENSA_IdEENSA_IS6_EEb.uses_vcc, 1
	.set _ZN9rocsparseL11bsrilu0_2_8ILj64ELj64ELj8E21rocsparse_complex_numIfEEEv20rocsparse_direction_iPKiS5_PT2_S5_iPiS5_S8_21rocsparse_index_base_imNS_24const_host_device_scalarIfEENSA_IdEENSA_IS6_EEb.uses_flat_scratch, 0
	.set _ZN9rocsparseL11bsrilu0_2_8ILj64ELj64ELj8E21rocsparse_complex_numIfEEEv20rocsparse_direction_iPKiS5_PT2_S5_iPiS5_S8_21rocsparse_index_base_imNS_24const_host_device_scalarIfEENSA_IdEENSA_IS6_EEb.has_dyn_sized_stack, 0
	.set _ZN9rocsparseL11bsrilu0_2_8ILj64ELj64ELj8E21rocsparse_complex_numIfEEEv20rocsparse_direction_iPKiS5_PT2_S5_iPiS5_S8_21rocsparse_index_base_imNS_24const_host_device_scalarIfEENSA_IdEENSA_IS6_EEb.has_recursion, 0
	.set _ZN9rocsparseL11bsrilu0_2_8ILj64ELj64ELj8E21rocsparse_complex_numIfEEEv20rocsparse_direction_iPKiS5_PT2_S5_iPiS5_S8_21rocsparse_index_base_imNS_24const_host_device_scalarIfEENSA_IdEENSA_IS6_EEb.has_indirect_call, 0
	.section	.AMDGPU.csdata,"",@progbits
; Kernel info:
; codeLenInByte = 4920
; TotalNumSgprs: 46
; NumVgprs: 34
; ScratchSize: 0
; MemoryBound: 0
; FloatMode: 240
; IeeeMode: 1
; LDSByteSize: 1152 bytes/workgroup (compile time only)
; SGPRBlocks: 0
; VGPRBlocks: 4
; NumSGPRsForWavesPerEU: 46
; NumVGPRsForWavesPerEU: 34
; Occupancy: 16
; WaveLimiterHint : 1
; COMPUTE_PGM_RSRC2:SCRATCH_EN: 0
; COMPUTE_PGM_RSRC2:USER_SGPR: 6
; COMPUTE_PGM_RSRC2:TRAP_HANDLER: 0
; COMPUTE_PGM_RSRC2:TGID_X_EN: 1
; COMPUTE_PGM_RSRC2:TGID_Y_EN: 0
; COMPUTE_PGM_RSRC2:TGID_Z_EN: 0
; COMPUTE_PGM_RSRC2:TIDIG_COMP_CNT: 1
	.section	.text._ZN9rocsparseL12bsrilu0_9_32ILj64ELj64ELj16E21rocsparse_complex_numIfEEEv20rocsparse_direction_iPKiS5_PT2_S5_iPiS5_S8_21rocsparse_index_base_imNS_24const_host_device_scalarIfEENSA_IdEENSA_IS6_EEb,"axG",@progbits,_ZN9rocsparseL12bsrilu0_9_32ILj64ELj64ELj16E21rocsparse_complex_numIfEEEv20rocsparse_direction_iPKiS5_PT2_S5_iPiS5_S8_21rocsparse_index_base_imNS_24const_host_device_scalarIfEENSA_IdEENSA_IS6_EEb,comdat
	.globl	_ZN9rocsparseL12bsrilu0_9_32ILj64ELj64ELj16E21rocsparse_complex_numIfEEEv20rocsparse_direction_iPKiS5_PT2_S5_iPiS5_S8_21rocsparse_index_base_imNS_24const_host_device_scalarIfEENSA_IdEENSA_IS6_EEb ; -- Begin function _ZN9rocsparseL12bsrilu0_9_32ILj64ELj64ELj16E21rocsparse_complex_numIfEEEv20rocsparse_direction_iPKiS5_PT2_S5_iPiS5_S8_21rocsparse_index_base_imNS_24const_host_device_scalarIfEENSA_IdEENSA_IS6_EEb
	.p2align	8
	.type	_ZN9rocsparseL12bsrilu0_9_32ILj64ELj64ELj16E21rocsparse_complex_numIfEEEv20rocsparse_direction_iPKiS5_PT2_S5_iPiS5_S8_21rocsparse_index_base_imNS_24const_host_device_scalarIfEENSA_IdEENSA_IS6_EEb,@function
_ZN9rocsparseL12bsrilu0_9_32ILj64ELj64ELj16E21rocsparse_complex_numIfEEEv20rocsparse_direction_iPKiS5_PT2_S5_iPiS5_S8_21rocsparse_index_base_imNS_24const_host_device_scalarIfEENSA_IdEENSA_IS6_EEb: ; @_ZN9rocsparseL12bsrilu0_9_32ILj64ELj64ELj16E21rocsparse_complex_numIfEEEv20rocsparse_direction_iPKiS5_PT2_S5_iPiS5_S8_21rocsparse_index_base_imNS_24const_host_device_scalarIfEENSA_IdEENSA_IS6_EEb
; %bb.0:
	s_clause 0x2
	s_load_dword s0, s[4:5], 0x70
	s_load_dwordx2 s[24:25], s[4:5], 0x48
	s_load_dwordx8 s[16:23], s[4:5], 0x50
	s_waitcnt lgkmcnt(0)
	s_bitcmp1_b32 s0, 0
	s_cselect_b32 s2, -1, 0
	s_cmp_eq_u32 s25, 0
	s_cselect_b32 s8, -1, 0
	s_cmp_lg_u32 s25, 0
	s_cselect_b32 s3, -1, 0
	s_or_b32 s9, s8, s2
	s_xor_b32 s7, s9, -1
	s_and_b32 s0, s8, exec_lo
	s_cselect_b32 s1, 0, s21
	s_cselect_b32 s0, 0, s20
	s_and_b32 vcc_lo, exec_lo, s9
	s_cbranch_vccnz .LBB17_2
; %bb.1:
	s_load_dword s0, s[18:19], 0x0
	s_waitcnt lgkmcnt(0)
	v_mov_b32_e32 v12, s0
	s_mov_b64 s[0:1], s[20:21]
	v_mov_b32_e32 v3, s1
	v_mov_b32_e32 v2, s0
	s_andn2_b32 vcc_lo, exec_lo, s7
	s_cbranch_vccz .LBB17_3
	s_branch .LBB17_4
.LBB17_2:
	v_cndmask_b32_e64 v12, s18, 0, s8
	v_mov_b32_e32 v3, s1
	v_mov_b32_e32 v2, s0
	s_andn2_b32 vcc_lo, exec_lo, s7
	s_cbranch_vccnz .LBB17_4
.LBB17_3:
	v_mov_b32_e32 v2, s20
	v_mov_b32_e32 v3, s21
	flat_load_dwordx2 v[2:3], v[2:3]
.LBB17_4:
	v_cndmask_b32_e64 v11, 0, 1, s3
	s_mov_b32 s33, 0
	s_andn2_b32 vcc_lo, exec_lo, s3
	s_mov_b32 s38, s33
	s_cbranch_vccnz .LBB17_10
; %bb.5:
	s_xor_b32 s0, s2, -1
	s_mov_b32 s33, s22
	v_cndmask_b32_e64 v4, 0, 1, s0
	s_andn2_b32 vcc_lo, exec_lo, s0
	s_cbranch_vccnz .LBB17_7
; %bb.6:
	s_load_dword s33, s[22:23], 0x0
.LBB17_7:
	v_cmp_ne_u32_e32 vcc_lo, 1, v4
	s_cbranch_vccnz .LBB17_9
; %bb.8:
	s_load_dword s23, s[22:23], 0x4
.LBB17_9:
	s_waitcnt lgkmcnt(0)
	s_mov_b32 s38, s23
.LBB17_10:
	s_clause 0x1
	s_load_dwordx4 s[20:23], s[4:5], 0x30
	s_load_dwordx2 s[18:19], s[4:5], 0x40
	s_mov_b32 s7, 0
	s_lshl_b64 s[0:1], s[6:7], 2
	s_waitcnt lgkmcnt(0)
	s_add_u32 s0, s22, s0
	s_addc_u32 s1, s23, s1
	s_load_dword s22, s[0:1], 0x0
	s_load_dwordx8 s[8:15], s[4:5], 0x8
	s_waitcnt lgkmcnt(0)
	s_ashr_i32 s23, s22, 31
	s_lshl_b64 s[26:27], s[22:23], 2
	s_add_u32 s0, s14, s26
	s_addc_u32 s1, s15, s27
	s_load_dword s28, s[0:1], 0x0
	s_waitcnt lgkmcnt(0)
	s_cmp_eq_u32 s28, -1
	s_cbranch_scc1 .LBB17_107
; %bb.11:
	s_add_u32 s0, s8, s26
	s_addc_u32 s1, s9, s27
	s_load_dwordx2 s[0:1], s[0:1], 0x0
	s_clause 0x1
	s_load_dwordx2 s[30:31], s[4:5], 0x0
	s_load_dword s23, s[4:5], 0x28
	s_waitcnt lgkmcnt(0)
	s_sub_i32 s34, s0, s24
	s_sub_i32 s25, s1, s24
	s_cmp_ge_i32 s34, s28
	s_cbranch_scc1 .LBB17_96
; %bb.12:
	v_lshlrev_b32_e32 v4, 4, v1
	v_mad_u64_u32 v[7:8], null, s23, s34, v[0:1]
	v_lshlrev_b32_e32 v9, 3, v0
	s_cmp_lg_u32 s30, 0
	v_add3_u32 v4, v4, v0, s34
	v_cmp_gt_i32_e64 s0, s23, v0
	v_cmp_le_i32_e64 s1, s23, v0
	v_mad_u32_u24 v14, 0x88, v1, v9
	v_mul_lo_u32 v15, s23, v7
	v_ashrrev_i32_e32 v5, 31, v4
	v_cmp_gt_i32_e64 s2, s23, v1
	v_cmp_eq_u32_e64 s3, 0, v1
	v_add_nc_u32_e32 v13, 1, v1
	v_cmp_gt_i32_e64 s4, s25, v4
	v_lshlrev_b64 v[5:6], 2, v[4:5]
	v_mul_u32_u24_e32 v16, 0x88, v1
	v_add_nc_u32_e32 v17, 0x880, v14
	v_add_nc_u32_e32 v18, 0x908, v14
	v_mad_u32_u24 v19, 0x88, v1, 0x88
	v_add_nc_u32_e32 v20, 0x880, v9
	v_add_co_u32 v5, vcc_lo, s10, v5
	v_add_co_ci_u32_e64 v6, null, s11, v6, vcc_lo
	v_mov_b32_e32 v21, 0
	s_cselect_b32 s29, -1, 0
	s_cmp_gt_i32 s23, 0
	s_mul_i32 s40, s23, s23
	s_cselect_b32 s39, -1, 0
	s_add_i32 s31, s31, 1
	s_lshl_b32 s41, s23, 4
	s_branch .LBB17_15
.LBB17_13:                              ;   in Loop: Header=BB17_15 Depth=1
	s_mov_b32 s7, -1
.LBB17_14:                              ;   in Loop: Header=BB17_15 Depth=1
	s_add_i32 s34, s34, 1
	v_add_nc_u32_e32 v15, s40, v15
	s_cmp_lt_i32 s34, s28
	s_cselect_b32 s6, -1, 0
	s_and_b32 s5, s5, s6
	s_and_b32 vcc_lo, exec_lo, s5
	s_cbranch_vccz .LBB17_96
.LBB17_15:                              ; =>This Loop Header: Depth=1
                                        ;     Child Loop BB17_18 Depth 2
                                        ;       Child Loop BB17_21 Depth 3
                                        ;     Child Loop BB17_27 Depth 2
                                        ;     Child Loop BB17_31 Depth 2
                                        ;       Child Loop BB17_34 Depth 3
                                        ;     Child Loop BB17_41 Depth 2
                                        ;       Child Loop BB17_44 Depth 3
                                        ;         Child Loop BB17_48 Depth 4
                                        ;     Child Loop BB17_52 Depth 2
                                        ;       Child Loop BB17_55 Depth 3
                                        ;     Child Loop BB17_64 Depth 2
                                        ;       Child Loop BB17_69 Depth 3
                                        ;       Child Loop BB17_78 Depth 3
                                        ;         Child Loop BB17_81 Depth 4
                                        ;       Child Loop BB17_87 Depth 3
                                        ;         Child Loop BB17_90 Depth 4
                                        ;           Child Loop BB17_91 Depth 5
	s_ashr_i32 s35, s34, 31
	s_lshl_b64 s[36:37], s[34:35], 2
	s_add_u32 s36, s10, s36
	s_addc_u32 s37, s11, s37
	global_load_dword v7, v21, s[36:37]
	s_waitcnt vmcnt(0)
	v_readfirstlane_b32 s5, v7
	s_and_saveexec_b32 s6, s0
	s_cbranch_execz .LBB17_25
; %bb.16:                               ;   in Loop: Header=BB17_15 Depth=1
	v_mov_b32_e32 v10, v17
	v_mov_b32_e32 v22, v15
	;; [unrolled: 1-line block ×3, first 2 shown]
	s_mul_i32 s35, s34, s23
	s_mov_b32 s36, 0
	s_inst_prefetch 0x1
	s_branch .LBB17_18
	.p2align	6
.LBB17_17:                              ;   in Loop: Header=BB17_18 Depth=2
	s_or_b32 exec_lo, exec_lo, s37
	v_add_nc_u32_e32 v7, 16, v7
	v_add_nc_u32_e32 v22, s41, v22
	;; [unrolled: 1-line block ×3, first 2 shown]
	v_cmp_le_i32_e32 vcc_lo, s23, v7
	s_or_b32 s36, vcc_lo, s36
	s_andn2_b32 exec_lo, exec_lo, s36
	s_cbranch_execz .LBB17_25
.LBB17_18:                              ;   Parent Loop BB17_15 Depth=1
                                        ; =>  This Loop Header: Depth=2
                                        ;       Child Loop BB17_21 Depth 3
	s_and_saveexec_b32 s37, s2
	s_cbranch_execz .LBB17_17
; %bb.19:                               ;   in Loop: Header=BB17_18 Depth=2
	v_mov_b32_e32 v23, v10
	v_mov_b32_e32 v24, v1
	s_mov_b32 s42, 0
	s_branch .LBB17_21
	.p2align	6
.LBB17_20:                              ;   in Loop: Header=BB17_21 Depth=3
	v_ashrrev_i32_e32 v9, 31, v8
	v_add_nc_u32_e32 v24, 4, v24
	v_lshlrev_b64 v[8:9], 3, v[8:9]
	v_add_co_u32 v8, vcc_lo, s12, v8
	v_add_co_ci_u32_e64 v9, null, s13, v9, vcc_lo
	v_cmp_le_i32_e32 vcc_lo, s23, v24
	global_load_dwordx2 v[8:9], v[8:9], off
	s_or_b32 s42, vcc_lo, s42
	s_waitcnt vmcnt(0)
	ds_write_b64 v23, v[8:9]
	v_add_nc_u32_e32 v23, 0x220, v23
	s_andn2_b32 exec_lo, exec_lo, s42
	s_cbranch_execz .LBB17_17
.LBB17_21:                              ;   Parent Loop BB17_15 Depth=1
                                        ;     Parent Loop BB17_18 Depth=2
                                        ; =>    This Inner Loop Header: Depth=3
	s_and_b32 vcc_lo, exec_lo, s29
	s_cbranch_vccz .LBB17_23
; %bb.22:                               ;   in Loop: Header=BB17_21 Depth=3
	v_add_nc_u32_e32 v8, s35, v24
	v_mad_u64_u32 v[8:9], null, v8, s23, v[7:8]
	s_cbranch_execnz .LBB17_20
	s_branch .LBB17_24
	.p2align	6
.LBB17_23:                              ;   in Loop: Header=BB17_21 Depth=3
                                        ; implicit-def: $vgpr8
.LBB17_24:                              ;   in Loop: Header=BB17_21 Depth=3
	v_add_nc_u32_e32 v8, v22, v24
	s_branch .LBB17_20
.LBB17_25:                              ;   in Loop: Header=BB17_15 Depth=1
	s_inst_prefetch 0x2
	s_or_b32 exec_lo, exec_lo, s6
	s_sub_i32 s36, s5, s24
	s_ashr_i32 s37, s36, 31
	s_lshl_b64 s[36:37], s[36:37], 2
	s_add_u32 s42, s14, s36
	s_addc_u32 s43, s15, s37
	global_load_dword v7, v21, s[42:43]
	s_waitcnt vmcnt(0)
	v_cmp_eq_u32_e32 vcc_lo, -1, v7
	v_readfirstlane_b32 s35, v7
	v_cmp_ne_u32_e64 s5, -1, v7
	s_cbranch_vccnz .LBB17_13
; %bb.26:                               ;   in Loop: Header=BB17_15 Depth=1
	s_add_u32 s42, s8, s36
	s_addc_u32 s43, s9, s37
	s_add_u32 s36, s20, s36
	global_load_dword v7, v21, s[42:43] offset:4
	s_addc_u32 s37, s21, s37
	s_waitcnt vmcnt(0)
	v_readfirstlane_b32 s42, v7
.LBB17_27:                              ;   Parent Loop BB17_15 Depth=1
                                        ; =>  This Inner Loop Header: Depth=2
	global_load_dword v7, v21, s[36:37] glc dlc
	s_waitcnt vmcnt(0)
	v_cmp_eq_u32_e32 vcc_lo, 0, v7
	s_cbranch_vccnz .LBB17_27
; %bb.28:                               ;   in Loop: Header=BB17_15 Depth=1
	s_waitcnt lgkmcnt(0)
	buffer_gl1_inv
	buffer_gl0_inv
	s_and_saveexec_b32 s6, s0
	s_cbranch_execz .LBB17_38
; %bb.29:                               ;   in Loop: Header=BB17_15 Depth=1
	s_mul_i32 s36, s35, s23
	v_mov_b32_e32 v22, v14
	v_add_nc_u32_e32 v7, s36, v0
	s_mov_b32 s37, 0
	v_mul_lo_u32 v10, s23, v7
	v_mov_b32_e32 v7, v0
	s_inst_prefetch 0x1
	s_branch .LBB17_31
	.p2align	6
.LBB17_30:                              ;   in Loop: Header=BB17_31 Depth=2
	s_or_b32 exec_lo, exec_lo, s43
	v_add_nc_u32_e32 v7, 16, v7
	v_add_nc_u32_e32 v10, s41, v10
	;; [unrolled: 1-line block ×3, first 2 shown]
	v_cmp_le_i32_e32 vcc_lo, s23, v7
	s_or_b32 s37, vcc_lo, s37
	s_andn2_b32 exec_lo, exec_lo, s37
	s_cbranch_execz .LBB17_38
.LBB17_31:                              ;   Parent Loop BB17_15 Depth=1
                                        ; =>  This Loop Header: Depth=2
                                        ;       Child Loop BB17_34 Depth 3
	s_and_saveexec_b32 s43, s2
	s_cbranch_execz .LBB17_30
; %bb.32:                               ;   in Loop: Header=BB17_31 Depth=2
	v_mov_b32_e32 v23, v22
	v_mov_b32_e32 v24, v1
	s_mov_b32 s44, 0
	s_branch .LBB17_34
	.p2align	6
.LBB17_33:                              ;   in Loop: Header=BB17_34 Depth=3
	v_ashrrev_i32_e32 v9, 31, v8
	v_add_nc_u32_e32 v24, 4, v24
	v_lshlrev_b64 v[8:9], 3, v[8:9]
	v_add_co_u32 v8, vcc_lo, s12, v8
	v_add_co_ci_u32_e64 v9, null, s13, v9, vcc_lo
	v_cmp_le_i32_e32 vcc_lo, s23, v24
	global_load_dwordx2 v[8:9], v[8:9], off
	s_or_b32 s44, vcc_lo, s44
	s_waitcnt vmcnt(0)
	ds_write_b64 v23, v[8:9]
	v_add_nc_u32_e32 v23, 0x220, v23
	s_andn2_b32 exec_lo, exec_lo, s44
	s_cbranch_execz .LBB17_30
.LBB17_34:                              ;   Parent Loop BB17_15 Depth=1
                                        ;     Parent Loop BB17_31 Depth=2
                                        ; =>    This Inner Loop Header: Depth=3
	s_and_b32 vcc_lo, exec_lo, s29
	s_cbranch_vccz .LBB17_36
; %bb.35:                               ;   in Loop: Header=BB17_34 Depth=3
	v_add_nc_u32_e32 v8, s36, v24
	v_mad_u64_u32 v[8:9], null, v8, s23, v[7:8]
	s_cbranch_execnz .LBB17_33
	s_branch .LBB17_37
	.p2align	6
.LBB17_36:                              ;   in Loop: Header=BB17_34 Depth=3
                                        ; implicit-def: $vgpr8
.LBB17_37:                              ;   in Loop: Header=BB17_34 Depth=3
	v_add_nc_u32_e32 v8, v10, v24
	s_branch .LBB17_33
.LBB17_38:                              ;   in Loop: Header=BB17_15 Depth=1
	s_inst_prefetch 0x2
	s_or_b32 exec_lo, exec_lo, s6
	s_andn2_b32 vcc_lo, exec_lo, s39
	s_waitcnt lgkmcnt(0)
	buffer_gl0_inv
	s_cbranch_vccnz .LBB17_49
; %bb.39:                               ;   in Loop: Header=BB17_15 Depth=1
	v_mov_b32_e32 v22, v19
	v_mov_b32_e32 v23, v18
	s_mov_b32 s36, 0
	s_branch .LBB17_41
.LBB17_40:                              ;   in Loop: Header=BB17_41 Depth=2
	s_or_b32 exec_lo, exec_lo, s37
	v_add_nc_u32_e32 v23, 0x88, v23
	v_add_nc_u32_e32 v22, 0x90, v22
	s_add_i32 s36, s36, 1
	s_waitcnt lgkmcnt(0)
	buffer_gl0_inv
	s_cmp_eq_u32 s36, s23
	s_cbranch_scc1 .LBB17_49
.LBB17_41:                              ;   Parent Loop BB17_15 Depth=1
                                        ; =>  This Loop Header: Depth=2
                                        ;       Child Loop BB17_44 Depth 3
                                        ;         Child Loop BB17_48 Depth 4
	s_and_saveexec_b32 s37, s0
	s_cbranch_execz .LBB17_40
; %bb.42:                               ;   in Loop: Header=BB17_41 Depth=2
	s_mul_i32 s43, s36, 0x88
	s_lshl_b32 s6, s36, 3
	s_mov_b32 s44, 0
	s_add_i32 s6, s43, s6
	s_addk_i32 s43, 0x880
	v_mov_b32_e32 v7, s6
	ds_read_b64 v[7:8], v7
	s_waitcnt lgkmcnt(0)
	v_mul_f32_e32 v9, v8, v8
	v_fmac_f32_e32 v9, v7, v7
	v_div_scale_f32 v10, null, v9, v9, 1.0
	v_div_scale_f32 v26, vcc_lo, 1.0, v9, 1.0
	v_rcp_f32_e32 v25, v10
	v_fma_f32 v24, -v10, v25, 1.0
	v_fmac_f32_e32 v25, v24, v25
	v_mul_f32_e32 v27, v26, v25
	v_fma_f32 v24, -v10, v27, v26
	v_fmac_f32_e32 v27, v24, v25
	v_add_nc_u32_e32 v24, s36, v13
	v_fma_f32 v10, -v10, v27, v26
	v_div_fmas_f32 v10, v10, v25, v27
	v_mov_b32_e32 v25, v23
	v_mov_b32_e32 v27, v0
	v_cmp_gt_i32_e32 vcc_lo, s23, v24
	v_div_fixup_f32 v26, v10, v9, 1.0
	s_branch .LBB17_44
.LBB17_43:                              ;   in Loop: Header=BB17_44 Depth=3
	s_or_b32 exec_lo, exec_lo, s45
	v_add_nc_u32_e32 v27, 16, v27
	v_add_nc_u32_e32 v25, 0x80, v25
	v_cmp_le_i32_e64 s6, s23, v27
	s_or_b32 s44, s6, s44
	s_andn2_b32 exec_lo, exec_lo, s44
	s_cbranch_execz .LBB17_40
.LBB17_44:                              ;   Parent Loop BB17_15 Depth=1
                                        ;     Parent Loop BB17_41 Depth=2
                                        ; =>    This Loop Header: Depth=3
                                        ;         Child Loop BB17_48 Depth 4
	v_lshl_add_u32 v28, v27, 3, s43
	ds_read_b64 v[9:10], v28
	s_waitcnt lgkmcnt(0)
	buffer_gl0_inv
	v_mul_f32_e32 v29, v8, v10
	v_mul_f32_e64 v30, v8, -v9
	v_fmac_f32_e32 v29, v9, v7
	v_fmac_f32_e32 v30, v10, v7
	v_mul_f32_e32 v9, v26, v29
	v_mul_f32_e32 v10, v26, v30
	s_and_saveexec_b32 s6, s3
; %bb.45:                               ;   in Loop: Header=BB17_44 Depth=3
	ds_write_b64 v28, v[9:10]
; %bb.46:                               ;   in Loop: Header=BB17_44 Depth=3
	s_or_b32 exec_lo, exec_lo, s6
	s_and_saveexec_b32 s45, vcc_lo
	s_cbranch_execz .LBB17_43
; %bb.47:                               ;   in Loop: Header=BB17_44 Depth=3
	v_mov_b32_e32 v28, v22
	v_mov_b32_e32 v29, v25
	;; [unrolled: 1-line block ×3, first 2 shown]
	s_mov_b32 s46, 0
	.p2align	6
.LBB17_48:                              ;   Parent Loop BB17_15 Depth=1
                                        ;     Parent Loop BB17_41 Depth=2
                                        ;       Parent Loop BB17_44 Depth=3
                                        ; =>      This Inner Loop Header: Depth=4
	ds_read_b64 v[31:32], v28
	ds_read_b64 v[33:34], v29
	v_add_nc_u32_e32 v30, 4, v30
	v_add_nc_u32_e32 v28, 0x220, v28
	v_cmp_le_i32_e64 s6, s23, v30
	s_or_b32 s46, s6, s46
	s_waitcnt lgkmcnt(0)
	v_fma_f32 v33, -v9, v31, v33
	v_fma_f32 v31, -v10, v31, v34
	v_fmac_f32_e32 v33, v10, v32
	v_fma_f32 v34, -v9, v32, v31
	ds_write_b64 v29, v[33:34]
	v_add_nc_u32_e32 v29, 0x220, v29
	s_andn2_b32 exec_lo, exec_lo, s46
	s_cbranch_execnz .LBB17_48
	s_branch .LBB17_43
.LBB17_49:                              ;   in Loop: Header=BB17_15 Depth=1
	s_and_saveexec_b32 s36, s0
	s_cbranch_execz .LBB17_59
; %bb.50:                               ;   in Loop: Header=BB17_15 Depth=1
	v_mov_b32_e32 v10, v17
	v_mov_b32_e32 v22, v15
	;; [unrolled: 1-line block ×3, first 2 shown]
	s_mul_i32 s37, s34, s23
	s_mov_b32 s43, 0
	s_inst_prefetch 0x1
	s_branch .LBB17_52
	.p2align	6
.LBB17_51:                              ;   in Loop: Header=BB17_52 Depth=2
	s_or_b32 exec_lo, exec_lo, s44
	v_add_nc_u32_e32 v7, 16, v7
	v_add_nc_u32_e32 v22, s41, v22
	;; [unrolled: 1-line block ×3, first 2 shown]
	v_cmp_le_i32_e32 vcc_lo, s23, v7
	s_or_b32 s43, vcc_lo, s43
	s_andn2_b32 exec_lo, exec_lo, s43
	s_cbranch_execz .LBB17_59
.LBB17_52:                              ;   Parent Loop BB17_15 Depth=1
                                        ; =>  This Loop Header: Depth=2
                                        ;       Child Loop BB17_55 Depth 3
	s_and_saveexec_b32 s44, s2
	s_cbranch_execz .LBB17_51
; %bb.53:                               ;   in Loop: Header=BB17_52 Depth=2
	v_mov_b32_e32 v23, v10
	v_mov_b32_e32 v24, v1
	s_mov_b32 s45, 0
	s_branch .LBB17_55
	.p2align	6
.LBB17_54:                              ;   in Loop: Header=BB17_55 Depth=3
	ds_read_b64 v[25:26], v23
	v_ashrrev_i32_e32 v9, 31, v8
	v_add_nc_u32_e32 v24, 4, v24
	v_add_nc_u32_e32 v23, 0x220, v23
	v_lshlrev_b64 v[8:9], 3, v[8:9]
	v_cmp_le_i32_e32 vcc_lo, s23, v24
	s_or_b32 s45, vcc_lo, s45
	v_add_co_u32 v8, s6, s12, v8
	v_add_co_ci_u32_e64 v9, null, s13, v9, s6
	s_waitcnt lgkmcnt(0)
	global_store_dwordx2 v[8:9], v[25:26], off
	s_andn2_b32 exec_lo, exec_lo, s45
	s_cbranch_execz .LBB17_51
.LBB17_55:                              ;   Parent Loop BB17_15 Depth=1
                                        ;     Parent Loop BB17_52 Depth=2
                                        ; =>    This Inner Loop Header: Depth=3
	s_and_b32 vcc_lo, exec_lo, s29
	s_cbranch_vccz .LBB17_57
; %bb.56:                               ;   in Loop: Header=BB17_55 Depth=3
	v_add_nc_u32_e32 v8, s37, v24
	v_mad_u64_u32 v[8:9], null, v8, s23, v[7:8]
	s_cbranch_execnz .LBB17_54
	s_branch .LBB17_58
	.p2align	6
.LBB17_57:                              ;   in Loop: Header=BB17_55 Depth=3
                                        ; implicit-def: $vgpr8
.LBB17_58:                              ;   in Loop: Header=BB17_55 Depth=3
	v_add_nc_u32_e32 v8, v22, v24
	s_branch .LBB17_54
.LBB17_59:                              ;   in Loop: Header=BB17_15 Depth=1
	s_inst_prefetch 0x2
	s_or_b32 exec_lo, exec_lo, s36
	s_sub_i32 s6, s42, s24
	s_add_i32 s36, s35, 1
	s_cmp_ge_i32 s36, s6
	s_cbranch_scc1 .LBB17_14
; %bb.60:                               ;   in Loop: Header=BB17_15 Depth=1
	v_mad_u64_u32 v[7:8], null, s23, s36, v[0:1]
	v_mul_lo_u32 v10, s23, v7
	s_branch .LBB17_64
.LBB17_61:                              ;   in Loop: Header=BB17_64 Depth=2
	s_or_b32 exec_lo, exec_lo, s37
.LBB17_62:                              ;   in Loop: Header=BB17_64 Depth=2
	s_or_b32 exec_lo, exec_lo, s35
.LBB17_63:                              ;   in Loop: Header=BB17_64 Depth=2
	v_add_nc_u32_e32 v10, s40, v10
	s_add_i32 s36, s36, 1
	s_waitcnt lgkmcnt(0)
	s_waitcnt_vscnt null, 0x0
	buffer_gl0_inv
	s_cmp_lt_i32 s36, s6
	s_cbranch_scc0 .LBB17_14
.LBB17_64:                              ;   Parent Loop BB17_15 Depth=1
                                        ; =>  This Loop Header: Depth=2
                                        ;       Child Loop BB17_69 Depth 3
                                        ;       Child Loop BB17_78 Depth 3
                                        ;         Child Loop BB17_81 Depth 4
                                        ;       Child Loop BB17_87 Depth 3
                                        ;         Child Loop BB17_90 Depth 4
                                        ;           Child Loop BB17_91 Depth 5
	s_ashr_i32 s37, s36, 31
	v_mov_b32_e32 v8, s31
	s_lshl_b64 s[42:43], s[36:37], 2
	s_add_u32 s42, s10, s42
	s_addc_u32 s43, s11, s43
	global_load_dword v7, v21, s[42:43]
	s_and_saveexec_b32 s35, s4
	s_cbranch_execz .LBB17_66
; %bb.65:                               ;   in Loop: Header=BB17_64 Depth=2
	global_load_dword v8, v[5:6], off
	s_waitcnt vmcnt(0)
	v_subrev_nc_u32_e32 v8, s24, v8
.LBB17_66:                              ;   in Loop: Header=BB17_64 Depth=2
	s_or_b32 exec_lo, exec_lo, s35
	s_waitcnt vmcnt(0)
	v_subrev_nc_u32_e32 v9, s24, v7
	v_mov_b32_e32 v22, v4
	s_mov_b32 s35, exec_lo
	v_cmpx_lt_i32_e64 v8, v9
	s_cbranch_execz .LBB17_72
; %bb.67:                               ;   in Loop: Header=BB17_64 Depth=2
	v_mov_b32_e32 v7, v4
	s_mov_b32 s37, 0
	s_branch .LBB17_69
	.p2align	6
.LBB17_68:                              ;   in Loop: Header=BB17_69 Depth=3
	s_or_b32 exec_lo, exec_lo, s42
	v_cmp_ge_i32_e32 vcc_lo, v8, v9
	v_mov_b32_e32 v7, v22
	s_or_b32 s37, vcc_lo, s37
	s_andn2_b32 exec_lo, exec_lo, s37
	s_cbranch_execz .LBB17_71
.LBB17_69:                              ;   Parent Loop BB17_15 Depth=1
                                        ;     Parent Loop BB17_64 Depth=2
                                        ; =>    This Inner Loop Header: Depth=3
	v_add_nc_u32_e32 v22, 64, v7
	v_mov_b32_e32 v8, s31
	s_mov_b32 s42, exec_lo
	v_cmpx_gt_i32_e64 s25, v22
	s_cbranch_execz .LBB17_68
; %bb.70:                               ;   in Loop: Header=BB17_69 Depth=3
	v_ashrrev_i32_e32 v8, 31, v7
	v_lshlrev_b64 v[7:8], 2, v[7:8]
	v_add_co_u32 v7, vcc_lo, s10, v7
	v_add_co_ci_u32_e64 v8, null, s11, v8, vcc_lo
	global_load_dword v7, v[7:8], off offset:256
	s_waitcnt vmcnt(0)
	v_subrev_nc_u32_e32 v8, s24, v7
	s_branch .LBB17_68
.LBB17_71:                              ;   in Loop: Header=BB17_64 Depth=2
	s_or_b32 exec_lo, exec_lo, s37
.LBB17_72:                              ;   in Loop: Header=BB17_64 Depth=2
	s_or_b32 exec_lo, exec_lo, s35
	v_cmp_eq_u32_e32 vcc_lo, v8, v9
	s_cbranch_vccz .LBB17_63
; %bb.73:                               ;   in Loop: Header=BB17_64 Depth=2
	s_ff1_i32_b32 s35, vcc_lo
	s_lshl_b32 s35, s35, 2
	v_mov_b32_e32 v7, s35
	ds_bpermute_b32 v22, v7, v22
	s_and_saveexec_b32 s35, s1
	s_xor_b32 s35, exec_lo, s35
	s_cbranch_execz .LBB17_75
; %bb.74:                               ;   in Loop: Header=BB17_64 Depth=2
	s_waitcnt lgkmcnt(0)
	s_waitcnt_vscnt null, 0x0
	buffer_gl0_inv
                                        ; implicit-def: $vgpr22
.LBB17_75:                              ;   in Loop: Header=BB17_64 Depth=2
	s_andn2_saveexec_b32 s35, s35
	s_cbranch_execz .LBB17_62
; %bb.76:                               ;   in Loop: Header=BB17_64 Depth=2
	v_mov_b32_e32 v23, v14
	v_mov_b32_e32 v24, v10
	;; [unrolled: 1-line block ×3, first 2 shown]
	s_mul_i32 s42, s36, s23
	s_mov_b32 s37, 0
	s_inst_prefetch 0x1
	s_branch .LBB17_78
	.p2align	6
.LBB17_77:                              ;   in Loop: Header=BB17_78 Depth=3
	s_or_b32 exec_lo, exec_lo, s43
	v_add_nc_u32_e32 v7, 16, v7
	v_add_nc_u32_e32 v24, s41, v24
	;; [unrolled: 1-line block ×3, first 2 shown]
	v_cmp_le_i32_e32 vcc_lo, s23, v7
	s_or_b32 s37, vcc_lo, s37
	s_andn2_b32 exec_lo, exec_lo, s37
	s_cbranch_execz .LBB17_85
.LBB17_78:                              ;   Parent Loop BB17_15 Depth=1
                                        ;     Parent Loop BB17_64 Depth=2
                                        ; =>    This Loop Header: Depth=3
                                        ;         Child Loop BB17_81 Depth 4
	s_and_saveexec_b32 s43, s2
	s_cbranch_execz .LBB17_77
; %bb.79:                               ;   in Loop: Header=BB17_78 Depth=3
	v_mov_b32_e32 v25, v23
	v_mov_b32_e32 v26, v1
	s_mov_b32 s44, 0
	s_branch .LBB17_81
	.p2align	6
.LBB17_80:                              ;   in Loop: Header=BB17_81 Depth=4
	v_ashrrev_i32_e32 v9, 31, v8
	v_add_nc_u32_e32 v26, 4, v26
	v_lshlrev_b64 v[8:9], 3, v[8:9]
	v_add_co_u32 v8, vcc_lo, s12, v8
	v_add_co_ci_u32_e64 v9, null, s13, v9, vcc_lo
	v_cmp_le_i32_e32 vcc_lo, s23, v26
	global_load_dwordx2 v[8:9], v[8:9], off
	s_or_b32 s44, vcc_lo, s44
	s_waitcnt vmcnt(0)
	ds_write_b64 v25, v[8:9]
	v_add_nc_u32_e32 v25, 0x220, v25
	s_andn2_b32 exec_lo, exec_lo, s44
	s_cbranch_execz .LBB17_77
.LBB17_81:                              ;   Parent Loop BB17_15 Depth=1
                                        ;     Parent Loop BB17_64 Depth=2
                                        ;       Parent Loop BB17_78 Depth=3
                                        ; =>      This Inner Loop Header: Depth=4
	s_and_b32 vcc_lo, exec_lo, s29
	s_cbranch_vccz .LBB17_83
; %bb.82:                               ;   in Loop: Header=BB17_81 Depth=4
	v_add_nc_u32_e32 v8, s42, v26
	v_mad_u64_u32 v[8:9], null, v8, s23, v[7:8]
	s_cbranch_execnz .LBB17_80
	s_branch .LBB17_84
	.p2align	6
.LBB17_83:                              ;   in Loop: Header=BB17_81 Depth=4
                                        ; implicit-def: $vgpr8
.LBB17_84:                              ;   in Loop: Header=BB17_81 Depth=4
	v_add_nc_u32_e32 v8, v24, v26
	s_branch .LBB17_80
.LBB17_85:                              ;   in Loop: Header=BB17_64 Depth=2
	s_inst_prefetch 0x2
	s_or_b32 exec_lo, exec_lo, s37
	s_waitcnt lgkmcnt(0)
	v_mul_lo_u32 v22, v22, s23
	v_mov_b32_e32 v23, v20
	v_mov_b32_e32 v7, v0
	s_mov_b32 s37, 0
	s_waitcnt_vscnt null, 0x0
	buffer_gl0_inv
	s_branch .LBB17_87
.LBB17_86:                              ;   in Loop: Header=BB17_87 Depth=3
	s_or_b32 exec_lo, exec_lo, s42
	v_add_nc_u32_e32 v7, 16, v7
	v_add_nc_u32_e32 v23, 0x80, v23
	v_cmp_le_i32_e32 vcc_lo, s23, v7
	s_or_b32 s37, vcc_lo, s37
	s_andn2_b32 exec_lo, exec_lo, s37
	s_cbranch_execz .LBB17_61
.LBB17_87:                              ;   Parent Loop BB17_15 Depth=1
                                        ;     Parent Loop BB17_64 Depth=2
                                        ; =>    This Loop Header: Depth=3
                                        ;         Child Loop BB17_90 Depth 4
                                        ;           Child Loop BB17_91 Depth 5
	s_and_saveexec_b32 s42, s2
	s_cbranch_execz .LBB17_86
; %bb.88:                               ;   in Loop: Header=BB17_87 Depth=3
	v_add_nc_u32_e32 v8, v7, v22
	v_mov_b32_e32 v25, v16
	v_mov_b32_e32 v26, v1
	s_mov_b32 s43, 0
	v_mul_lo_u32 v24, v8, s23
	s_branch .LBB17_90
.LBB17_89:                              ;   in Loop: Header=BB17_90 Depth=4
	v_ashrrev_i32_e32 v9, 31, v8
	v_add_nc_u32_e32 v26, 4, v26
	v_add_nc_u32_e32 v25, 0x220, v25
	v_lshlrev_b64 v[8:9], 3, v[8:9]
	v_add_co_u32 v8, vcc_lo, s12, v8
	v_add_co_ci_u32_e64 v9, null, s13, v9, vcc_lo
	v_cmp_le_i32_e32 vcc_lo, s23, v26
	global_load_dwordx2 v[29:30], v[8:9], off
	s_or_b32 s43, vcc_lo, s43
	s_waitcnt vmcnt(0)
	v_sub_f32_e32 v27, v29, v27
	v_sub_f32_e32 v28, v30, v28
	global_store_dwordx2 v[8:9], v[27:28], off
	s_andn2_b32 exec_lo, exec_lo, s43
	s_cbranch_execz .LBB17_86
.LBB17_90:                              ;   Parent Loop BB17_15 Depth=1
                                        ;     Parent Loop BB17_64 Depth=2
                                        ;       Parent Loop BB17_87 Depth=3
                                        ; =>      This Loop Header: Depth=4
                                        ;           Child Loop BB17_91 Depth 5
	v_mov_b32_e32 v27, 0
	v_mov_b32_e32 v8, v23
	;; [unrolled: 1-line block ×4, first 2 shown]
	s_mov_b32 s44, s23
.LBB17_91:                              ;   Parent Loop BB17_15 Depth=1
                                        ;     Parent Loop BB17_64 Depth=2
                                        ;       Parent Loop BB17_87 Depth=3
                                        ;         Parent Loop BB17_90 Depth=4
                                        ; =>        This Inner Loop Header: Depth=5
	ds_read_b64 v[29:30], v8
	ds_read_b64 v[31:32], v9
	v_add_nc_u32_e32 v9, 8, v9
	v_add_nc_u32_e32 v8, 0x88, v8
	s_add_i32 s44, s44, -1
	s_cmp_eq_u32 s44, 0
	s_waitcnt lgkmcnt(0)
	v_fmac_f32_e32 v27, v29, v31
	v_fmac_f32_e32 v28, v30, v31
	v_fma_f32 v27, -v30, v32, v27
	v_fmac_f32_e32 v28, v29, v32
	s_cbranch_scc0 .LBB17_91
; %bb.92:                               ;   in Loop: Header=BB17_90 Depth=4
	s_and_b32 vcc_lo, exec_lo, s29
	s_cbranch_vccz .LBB17_94
; %bb.93:                               ;   in Loop: Header=BB17_90 Depth=4
	v_add_nc_u32_e32 v8, v26, v22
	v_mad_u64_u32 v[8:9], null, v8, s23, v[7:8]
	s_cbranch_execnz .LBB17_89
	s_branch .LBB17_95
.LBB17_94:                              ;   in Loop: Header=BB17_90 Depth=4
                                        ; implicit-def: $vgpr8
.LBB17_95:                              ;   in Loop: Header=BB17_90 Depth=4
	v_add_nc_u32_e32 v8, v26, v24
	s_branch .LBB17_89
.LBB17_96:
	s_ashr_i32 s29, s28, 31
	v_mov_b32_e32 v4, 0
	s_lshl_b64 s[0:1], s[28:29], 2
	s_add_u32 s0, s10, s0
	s_addc_u32 s1, s11, s1
	global_load_dword v4, v4, s[0:1]
	s_waitcnt vmcnt(0)
	v_subrev_nc_u32_e32 v4, s24, v4
	v_cmp_ne_u32_e32 vcc_lo, s22, v4
	s_cbranch_vccnz .LBB17_147
; %bb.97:
	v_cmp_gt_i32_e64 s0, s23, v0
	s_and_saveexec_b32 s2, s0
	s_cbranch_execz .LBB17_108
; %bb.98:
	s_mul_i32 s3, s28, s23
	v_lshlrev_b32_e32 v5, 3, v0
	v_add_nc_u32_e32 v4, s3, v0
	v_cmp_gt_u32_e64 s1, s23, v1
	s_cmp_lg_u32 s30, 0
	s_mov_b32 s4, 0
	v_mad_u32_u24 v8, 0x88, v1, v5
	v_mul_lo_u32 v7, s23, v4
	v_mov_b32_e32 v4, v0
	s_cselect_b32 s5, -1, 0
	s_lshl_b32 s6, s23, 4
	s_inst_prefetch 0x1
	s_branch .LBB17_100
	.p2align	6
.LBB17_99:                              ;   in Loop: Header=BB17_100 Depth=1
	s_or_b32 exec_lo, exec_lo, s8
	v_add_nc_u32_e32 v4, 16, v4
	v_add_nc_u32_e32 v7, s6, v7
	;; [unrolled: 1-line block ×3, first 2 shown]
	v_cmp_le_i32_e32 vcc_lo, s23, v4
	s_or_b32 s4, vcc_lo, s4
	s_andn2_b32 exec_lo, exec_lo, s4
	s_cbranch_execz .LBB17_108
.LBB17_100:                             ; =>This Loop Header: Depth=1
                                        ;     Child Loop BB17_103 Depth 2
	s_and_saveexec_b32 s8, s1
	s_cbranch_execz .LBB17_99
; %bb.101:                              ;   in Loop: Header=BB17_100 Depth=1
	v_mov_b32_e32 v9, v8
	v_mov_b32_e32 v10, v1
	s_mov_b32 s9, 0
	s_branch .LBB17_103
	.p2align	6
.LBB17_102:                             ;   in Loop: Header=BB17_103 Depth=2
	v_ashrrev_i32_e32 v6, 31, v5
	v_add_nc_u32_e32 v10, 4, v10
	v_lshlrev_b64 v[5:6], 3, v[5:6]
	v_add_co_u32 v5, vcc_lo, s12, v5
	v_add_co_ci_u32_e64 v6, null, s13, v6, vcc_lo
	v_cmp_le_i32_e32 vcc_lo, s23, v10
	global_load_dwordx2 v[5:6], v[5:6], off
	s_or_b32 s9, vcc_lo, s9
	s_waitcnt vmcnt(0)
	ds_write_b64 v9, v[5:6]
	v_add_nc_u32_e32 v9, 0x220, v9
	s_andn2_b32 exec_lo, exec_lo, s9
	s_cbranch_execz .LBB17_99
.LBB17_103:                             ;   Parent Loop BB17_100 Depth=1
                                        ; =>  This Inner Loop Header: Depth=2
	s_and_b32 vcc_lo, exec_lo, s5
	s_cbranch_vccz .LBB17_105
; %bb.104:                              ;   in Loop: Header=BB17_103 Depth=2
	v_add_nc_u32_e32 v5, s3, v10
	v_mad_u64_u32 v[5:6], null, v5, s23, v[4:5]
	s_cbranch_execnz .LBB17_102
	s_branch .LBB17_106
	.p2align	6
.LBB17_105:                             ;   in Loop: Header=BB17_103 Depth=2
                                        ; implicit-def: $vgpr5
.LBB17_106:                             ;   in Loop: Header=BB17_103 Depth=2
	v_add_nc_u32_e32 v5, v7, v10
	s_branch .LBB17_102
.LBB17_107:
	s_mov_b32 s7, -1
	s_branch .LBB17_199
.LBB17_108:
	s_inst_prefetch 0x2
	s_or_b32 exec_lo, exec_lo, s2
	s_cmp_lt_i32 s23, 1
	s_waitcnt lgkmcnt(0)
	s_waitcnt_vscnt null, 0x0
	buffer_gl0_inv
	s_cbranch_scc1 .LBB17_136
; %bb.109:
	v_cvt_f64_f32_e32 v[4:5], v12
	v_or_b32_e32 v6, v0, v1
	v_mul_u32_u24_e32 v7, 0x88, v1
	v_lshlrev_b32_e32 v8, 3, v0
	s_cmp_eq_u64 s[16:17], 8
	v_cmp_eq_u32_e64 s1, 0, v1
	s_cselect_b32 vcc_lo, -1, 0
	v_cmp_eq_u32_e64 s2, 0, v6
	v_add3_u32 v8, v7, v8, 0x90
	v_mad_u32_u24 v9, 0x88, v1, 0x88
	s_mov_b32 s4, 0
	v_cndmask_b32_e32 v3, v5, v3, vcc_lo
	v_cndmask_b32_e32 v2, v4, v2, vcc_lo
.LBB17_110:                             ; =>This Loop Header: Depth=1
                                        ;     Child Loop BB17_127 Depth 2
                                        ;       Child Loop BB17_131 Depth 3
	s_mul_i32 s5, s4, 0x88
	s_lshl_b32 s3, s4, 3
	v_cmp_ne_u32_e32 vcc_lo, 1, v11
	s_add_i32 s6, s5, s3
	s_mov_b32 s3, 0
	v_mov_b32_e32 v4, s6
	s_mov_b32 s8, -1
	s_waitcnt lgkmcnt(0)
	ds_read_b64 v[6:7], v4
                                        ; implicit-def: $vgpr4
	s_cbranch_vccz .LBB17_115
; %bb.111:                              ;   in Loop: Header=BB17_110 Depth=1
	s_and_b32 vcc_lo, exec_lo, s8
	s_mov_b32 s8, 0
	s_cbranch_vccnz .LBB17_123
.LBB17_112:                             ;   in Loop: Header=BB17_110 Depth=1
	s_andn2_b32 vcc_lo, exec_lo, s3
                                        ; implicit-def: $sgpr6
	s_cbranch_vccz .LBB17_124
.LBB17_113:                             ;   in Loop: Header=BB17_110 Depth=1
	s_andn2_b32 vcc_lo, exec_lo, s8
	s_cbranch_vccz .LBB17_133
.LBB17_114:                             ;   in Loop: Header=BB17_110 Depth=1
	v_add_nc_u32_e32 v8, 0x90, v8
	v_add_nc_u32_e32 v9, 0x90, v9
	s_cmp_eq_u32 s6, s23
	s_cbranch_scc0 .LBB17_134
	s_branch .LBB17_136
.LBB17_115:                             ;   in Loop: Header=BB17_110 Depth=1
	s_waitcnt lgkmcnt(0)
	v_cmp_gt_f32_e32 vcc_lo, 0, v6
	v_cndmask_b32_e64 v4, v6, -v6, vcc_lo
	v_cmp_gt_f32_e32 vcc_lo, 0, v7
	v_cndmask_b32_e64 v5, v7, -v7, vcc_lo
	v_cmp_ngt_f32_e32 vcc_lo, v4, v5
	s_cbranch_vccz .LBB17_118
; %bb.116:                              ;   in Loop: Header=BB17_110 Depth=1
	v_cmp_eq_f32_e32 vcc_lo, 0, v7
	s_cbranch_vccnz .LBB17_135
; %bb.117:                              ;   in Loop: Header=BB17_110 Depth=1
	v_div_scale_f32 v10, null, v5, v5, v4
	v_div_scale_f32 v14, vcc_lo, v4, v5, v4
	v_rcp_f32_e32 v12, v10
	v_fma_f32 v13, -v10, v12, 1.0
	v_fmac_f32_e32 v12, v13, v12
	v_mul_f32_e32 v13, v14, v12
	v_fma_f32 v15, -v10, v13, v14
	v_fmac_f32_e32 v13, v15, v12
	v_fma_f32 v10, -v10, v13, v14
	v_div_fmas_f32 v10, v10, v12, v13
	v_div_fixup_f32 v10, v10, v5, v4
	v_fma_f32 v10, v10, v10, 1.0
	v_mul_f32_e32 v12, 0x4f800000, v10
	v_cmp_gt_f32_e32 vcc_lo, 0xf800000, v10
	v_cndmask_b32_e32 v10, v10, v12, vcc_lo
	v_sqrt_f32_e32 v12, v10
	v_add_nc_u32_e32 v13, -1, v12
	v_add_nc_u32_e32 v14, 1, v12
	v_fma_f32 v15, -v13, v12, v10
	v_fma_f32 v16, -v14, v12, v10
	v_cmp_ge_f32_e64 s3, 0, v15
	v_cndmask_b32_e64 v12, v12, v13, s3
	v_cmp_lt_f32_e64 s3, 0, v16
	v_cndmask_b32_e64 v12, v12, v14, s3
	v_mul_f32_e32 v13, 0x37800000, v12
	v_cndmask_b32_e32 v12, v12, v13, vcc_lo
	v_cmp_class_f32_e64 vcc_lo, v10, 0x260
	v_cndmask_b32_e32 v10, v12, v10, vcc_lo
	v_mul_f32_e32 v10, v5, v10
	s_cbranch_execz .LBB17_119
	s_branch .LBB17_120
.LBB17_118:                             ;   in Loop: Header=BB17_110 Depth=1
                                        ; implicit-def: $vgpr10
.LBB17_119:                             ;   in Loop: Header=BB17_110 Depth=1
	v_div_scale_f32 v10, null, v4, v4, v5
	v_div_scale_f32 v14, vcc_lo, v5, v4, v5
	v_rcp_f32_e32 v12, v10
	v_fma_f32 v13, -v10, v12, 1.0
	v_fmac_f32_e32 v12, v13, v12
	v_mul_f32_e32 v13, v14, v12
	v_fma_f32 v15, -v10, v13, v14
	v_fmac_f32_e32 v13, v15, v12
	v_fma_f32 v10, -v10, v13, v14
	v_div_fmas_f32 v10, v10, v12, v13
	v_div_fixup_f32 v5, v10, v4, v5
	v_fma_f32 v5, v5, v5, 1.0
	v_mul_f32_e32 v10, 0x4f800000, v5
	v_cmp_gt_f32_e32 vcc_lo, 0xf800000, v5
	v_cndmask_b32_e32 v5, v5, v10, vcc_lo
	v_sqrt_f32_e32 v10, v5
	v_add_nc_u32_e32 v12, -1, v10
	v_add_nc_u32_e32 v13, 1, v10
	v_fma_f32 v14, -v12, v10, v5
	v_fma_f32 v15, -v13, v10, v5
	v_cmp_ge_f32_e64 s3, 0, v14
	v_cndmask_b32_e64 v10, v10, v12, s3
	v_cmp_lt_f32_e64 s3, 0, v15
	v_cndmask_b32_e64 v10, v10, v13, s3
	v_mul_f32_e32 v12, 0x37800000, v10
	v_cndmask_b32_e32 v10, v10, v12, vcc_lo
	v_cmp_class_f32_e64 vcc_lo, v5, 0x260
	v_cndmask_b32_e32 v5, v10, v5, vcc_lo
	v_mul_f32_e32 v10, v4, v5
.LBB17_120:                             ;   in Loop: Header=BB17_110 Depth=1
	v_cvt_f64_f32_e32 v[4:5], v10
	buffer_gl0_inv
	v_cmp_ge_f64_e32 vcc_lo, v[2:3], v[4:5]
	v_cndmask_b32_e64 v5, v7, s38, vcc_lo
	v_cndmask_b32_e64 v4, v6, s33, vcc_lo
	s_and_saveexec_b32 s3, s2
; %bb.121:                              ;   in Loop: Header=BB17_110 Depth=1
	v_mov_b32_e32 v10, s6
	ds_write_b64 v10, v[4:5]
; %bb.122:                              ;   in Loop: Header=BB17_110 Depth=1
	s_or_b32 exec_lo, exec_lo, s3
	s_mov_b32 s3, -1
	s_mov_b32 s8, 0
	s_branch .LBB17_112
.LBB17_123:                             ;   in Loop: Header=BB17_110 Depth=1
	s_waitcnt lgkmcnt(0)
	v_cmp_neq_f32_e32 vcc_lo, 0, v6
	v_cmp_neq_f32_e64 s3, 0, v7
	v_mov_b32_e32 v4, v6
	v_mov_b32_e32 v5, v7
	s_mov_b32 s8, -1
	s_or_b32 s3, vcc_lo, s3
	s_andn2_b32 vcc_lo, exec_lo, s3
                                        ; implicit-def: $sgpr6
	s_cbranch_vccnz .LBB17_113
.LBB17_124:                             ;   in Loop: Header=BB17_110 Depth=1
	s_add_i32 s6, s4, 1
	s_mov_b32 s8, exec_lo
	v_add_nc_u32_e32 v10, s6, v0
	v_cmpx_gt_i32_e64 s23, v10
	s_cbranch_execz .LBB17_132
; %bb.125:                              ;   in Loop: Header=BB17_110 Depth=1
	s_waitcnt lgkmcnt(0)
	v_mul_f32_e32 v6, v5, v5
	s_mov_b32 s9, 0
	v_fmac_f32_e32 v6, v4, v4
	v_div_scale_f32 v7, null, v6, v6, 1.0
	v_div_scale_f32 v14, vcc_lo, 1.0, v6, 1.0
	v_rcp_f32_e32 v13, v7
	v_fma_f32 v12, -v7, v13, 1.0
	v_fmac_f32_e32 v13, v12, v13
	v_mul_f32_e32 v15, v14, v13
	v_fma_f32 v12, -v7, v15, v14
	v_fmac_f32_e32 v15, v12, v13
	v_add_nc_u32_e32 v12, s6, v1
	v_fma_f32 v7, -v7, v15, v14
	v_mov_b32_e32 v14, v8
	v_div_fmas_f32 v7, v7, v13, v15
	v_cmp_gt_i32_e32 vcc_lo, s23, v12
	v_div_fixup_f32 v13, v7, v6, 1.0
	s_branch .LBB17_127
.LBB17_126:                             ;   in Loop: Header=BB17_127 Depth=2
	s_or_b32 exec_lo, exec_lo, s10
	v_add_nc_u32_e32 v10, 16, v10
	v_add_nc_u32_e32 v14, 0x80, v14
	v_cmp_le_i32_e64 s3, s23, v10
	s_or_b32 s9, s3, s9
	s_andn2_b32 exec_lo, exec_lo, s9
	s_cbranch_execz .LBB17_132
.LBB17_127:                             ;   Parent Loop BB17_110 Depth=1
                                        ; =>  This Loop Header: Depth=2
                                        ;       Child Loop BB17_131 Depth 3
	v_lshl_add_u32 v15, v10, 3, s5
	ds_read_b64 v[6:7], v15
	s_waitcnt lgkmcnt(0)
	buffer_gl0_inv
	v_mul_f32_e32 v16, v5, v7
	v_mul_f32_e64 v17, v5, -v6
	v_fmac_f32_e32 v16, v6, v4
	v_fmac_f32_e32 v17, v7, v4
	v_mul_f32_e32 v6, v13, v16
	v_mul_f32_e32 v7, v13, v17
	s_and_saveexec_b32 s3, s1
; %bb.128:                              ;   in Loop: Header=BB17_127 Depth=2
	ds_write_b64 v15, v[6:7]
; %bb.129:                              ;   in Loop: Header=BB17_127 Depth=2
	s_or_b32 exec_lo, exec_lo, s3
	s_and_saveexec_b32 s10, vcc_lo
	s_cbranch_execz .LBB17_126
; %bb.130:                              ;   in Loop: Header=BB17_127 Depth=2
	v_mov_b32_e32 v15, v9
	v_mov_b32_e32 v16, v14
	;; [unrolled: 1-line block ×3, first 2 shown]
	s_mov_b32 s11, 0
	.p2align	6
.LBB17_131:                             ;   Parent Loop BB17_110 Depth=1
                                        ;     Parent Loop BB17_127 Depth=2
                                        ; =>    This Inner Loop Header: Depth=3
	ds_read_b64 v[18:19], v15
	ds_read_b64 v[20:21], v16
	v_add_nc_u32_e32 v17, 4, v17
	v_add_nc_u32_e32 v15, 0x220, v15
	v_cmp_le_i32_e64 s3, s23, v17
	s_or_b32 s11, s3, s11
	s_waitcnt lgkmcnt(0)
	v_fma_f32 v20, -v6, v18, v20
	v_fma_f32 v18, -v7, v18, v21
	v_fmac_f32_e32 v20, v7, v19
	v_fma_f32 v21, -v6, v19, v18
	ds_write_b64 v16, v[20:21]
	v_add_nc_u32_e32 v16, 0x220, v16
	s_andn2_b32 exec_lo, exec_lo, s11
	s_cbranch_execnz .LBB17_131
	s_branch .LBB17_126
.LBB17_132:                             ;   in Loop: Header=BB17_110 Depth=1
	s_or_b32 exec_lo, exec_lo, s8
	s_cbranch_execnz .LBB17_114
.LBB17_133:                             ;   in Loop: Header=BB17_110 Depth=1
	s_add_i32 s6, s4, 1
	s_mov_b32 s7, -1
	v_add_nc_u32_e32 v8, 0x90, v8
	v_add_nc_u32_e32 v9, 0x90, v9
	s_cmp_eq_u32 s6, s23
	s_cbranch_scc1 .LBB17_136
.LBB17_134:                             ;   in Loop: Header=BB17_110 Depth=1
	s_mov_b32 s4, s6
	s_branch .LBB17_110
.LBB17_135:                             ;   in Loop: Header=BB17_110 Depth=1
	v_mov_b32_e32 v10, 0
	s_cbranch_execz .LBB17_119
	s_branch .LBB17_120
.LBB17_136:
	s_waitcnt lgkmcnt(0)
	buffer_gl0_inv
	s_and_saveexec_b32 s2, s0
	s_cbranch_execz .LBB17_146
; %bb.137:
	s_mul_i32 s3, s28, s23
	v_lshlrev_b32_e32 v3, 3, v0
	v_add_nc_u32_e32 v2, s3, v0
	v_cmp_gt_u32_e64 s0, s23, v1
	s_cmp_lg_u32 s30, 0
	s_mov_b32 s4, 0
	v_mad_u32_u24 v6, 0x88, v1, v3
	v_mul_lo_u32 v5, s23, v2
	v_mov_b32_e32 v2, v0
	s_cselect_b32 s5, -1, 0
	s_lshl_b32 s6, s23, 4
	s_inst_prefetch 0x1
	s_branch .LBB17_139
	.p2align	6
.LBB17_138:                             ;   in Loop: Header=BB17_139 Depth=1
	s_or_b32 exec_lo, exec_lo, s8
	v_add_nc_u32_e32 v2, 16, v2
	v_add_nc_u32_e32 v5, s6, v5
	;; [unrolled: 1-line block ×3, first 2 shown]
	v_cmp_le_i32_e32 vcc_lo, s23, v2
	s_or_b32 s4, vcc_lo, s4
	s_andn2_b32 exec_lo, exec_lo, s4
	s_cbranch_execz .LBB17_146
.LBB17_139:                             ; =>This Loop Header: Depth=1
                                        ;     Child Loop BB17_142 Depth 2
	s_and_saveexec_b32 s8, s0
	s_cbranch_execz .LBB17_138
; %bb.140:                              ;   in Loop: Header=BB17_139 Depth=1
	v_mov_b32_e32 v7, v6
	v_mov_b32_e32 v8, v1
	s_mov_b32 s9, 0
	s_branch .LBB17_142
	.p2align	6
.LBB17_141:                             ;   in Loop: Header=BB17_142 Depth=2
	ds_read_b64 v[9:10], v7
	v_ashrrev_i32_e32 v4, 31, v3
	v_add_nc_u32_e32 v8, 4, v8
	v_add_nc_u32_e32 v7, 0x220, v7
	v_lshlrev_b64 v[3:4], 3, v[3:4]
	v_cmp_le_i32_e32 vcc_lo, s23, v8
	s_or_b32 s9, vcc_lo, s9
	v_add_co_u32 v3, s1, s12, v3
	v_add_co_ci_u32_e64 v4, null, s13, v4, s1
	s_waitcnt lgkmcnt(0)
	global_store_dwordx2 v[3:4], v[9:10], off
	s_andn2_b32 exec_lo, exec_lo, s9
	s_cbranch_execz .LBB17_138
.LBB17_142:                             ;   Parent Loop BB17_139 Depth=1
                                        ; =>  This Inner Loop Header: Depth=2
	s_and_b32 vcc_lo, exec_lo, s5
	s_cbranch_vccz .LBB17_144
; %bb.143:                              ;   in Loop: Header=BB17_142 Depth=2
	v_add_nc_u32_e32 v3, s3, v8
	v_mad_u64_u32 v[3:4], null, v3, s23, v[2:3]
	s_cbranch_execnz .LBB17_141
	s_branch .LBB17_145
	.p2align	6
.LBB17_144:                             ;   in Loop: Header=BB17_142 Depth=2
                                        ; implicit-def: $vgpr3
.LBB17_145:                             ;   in Loop: Header=BB17_142 Depth=2
	v_add_nc_u32_e32 v3, v5, v8
	s_branch .LBB17_141
.LBB17_146:
	s_inst_prefetch 0x2
	s_or_b32 exec_lo, exec_lo, s2
.LBB17_147:
	s_add_i32 s4, s28, 1
	s_cmp_ge_i32 s4, s25
	s_cbranch_scc1 .LBB17_199
; %bb.148:
	v_mad_u64_u32 v[2:3], null, s23, s4, v[0:1]
	v_lshlrev_b32_e32 v3, 3, v1
	s_cmp_lg_u32 s30, 0
	v_mul_u32_u24_e32 v4, 0x88, v1
	s_cselect_b32 s5, -1, 0
	s_cmp_gt_i32 s23, 0
	v_lshlrev_b32_e32 v5, 3, v0
	s_cselect_b32 s6, -1, 0
	s_cmp_lg_u32 s23, 1
	v_mad_u32_u24 v11, 0x88, v0, v3
	s_cselect_b32 s8, -1, 0
	s_and_b32 s9, s23, 0x7ffffffe
	s_bitcmp1_b32 s23, 0
	s_movk_i32 s3, 0x888
	v_cmp_gt_i32_e64 s0, s23, v0
	v_cmp_le_i32_e64 s1, s23, v0
	v_cmp_gt_i32_e64 s2, s23, v1
	v_add_nc_u32_e32 v6, 1, v1
	v_mul_lo_u32 v7, s23, v2
	v_add3_u32 v8, v4, v5, 0x880
	v_add_nc_u32_e32 v9, 0x888, v11
	v_add_nc_u32_e32 v2, 8, v3
	;; [unrolled: 1-line block ×4, first 2 shown]
	v_mad_u32_u24 v12, 0x88, v0, s3
	s_cselect_b32 s10, -1, 0
	s_mul_i32 s11, s23, s23
	s_lshl_b32 s14, s23, 4
	s_branch .LBB17_151
.LBB17_149:                             ;   in Loop: Header=BB17_151 Depth=1
	s_inst_prefetch 0x2
	s_or_b32 exec_lo, exec_lo, s16
.LBB17_150:                             ;   in Loop: Header=BB17_151 Depth=1
	s_or_b32 exec_lo, exec_lo, s15
	v_add_nc_u32_e32 v7, s11, v7
	s_add_i32 s4, s4, 1
	s_cmp_ge_i32 s4, s25
	s_cbranch_scc1 .LBB17_199
.LBB17_151:                             ; =>This Loop Header: Depth=1
                                        ;     Child Loop BB17_154 Depth 2
                                        ;       Child Loop BB17_157 Depth 3
                                        ;     Child Loop BB17_165 Depth 2
                                        ;       Child Loop BB17_168 Depth 3
                                        ;         Child Loop BB17_170 Depth 4
                                        ;       Child Loop BB17_173 Depth 3
                                        ;         Child Loop BB17_175 Depth 4
                                        ;     Child Loop BB17_182 Depth 2
                                        ;       Child Loop BB17_184 Depth 3
                                        ;     Child Loop BB17_192 Depth 2
                                        ;       Child Loop BB17_195 Depth 3
	s_waitcnt lgkmcnt(0)
	s_waitcnt_vscnt null, 0x0
	buffer_gl0_inv
	s_and_saveexec_b32 s3, s0
	s_cbranch_execz .LBB17_161
; %bb.152:                              ;   in Loop: Header=BB17_151 Depth=1
	v_mov_b32_e32 v13, v8
	v_mov_b32_e32 v14, v7
	;; [unrolled: 1-line block ×3, first 2 shown]
	s_mul_i32 s15, s4, s23
	s_mov_b32 s16, 0
	s_inst_prefetch 0x1
	s_branch .LBB17_154
	.p2align	6
.LBB17_153:                             ;   in Loop: Header=BB17_154 Depth=2
	s_or_b32 exec_lo, exec_lo, s17
	v_add_nc_u32_e32 v3, 16, v3
	v_add_nc_u32_e32 v14, s14, v14
	;; [unrolled: 1-line block ×3, first 2 shown]
	v_cmp_le_i32_e32 vcc_lo, s23, v3
	s_or_b32 s16, vcc_lo, s16
	s_andn2_b32 exec_lo, exec_lo, s16
	s_cbranch_execz .LBB17_161
.LBB17_154:                             ;   Parent Loop BB17_151 Depth=1
                                        ; =>  This Loop Header: Depth=2
                                        ;       Child Loop BB17_157 Depth 3
	s_and_saveexec_b32 s17, s2
	s_cbranch_execz .LBB17_153
; %bb.155:                              ;   in Loop: Header=BB17_154 Depth=2
	v_mov_b32_e32 v15, v13
	v_mov_b32_e32 v16, v1
	s_mov_b32 s28, 0
	s_branch .LBB17_157
	.p2align	6
.LBB17_156:                             ;   in Loop: Header=BB17_157 Depth=3
	v_ashrrev_i32_e32 v5, 31, v4
	v_add_nc_u32_e32 v16, 4, v16
	v_lshlrev_b64 v[4:5], 3, v[4:5]
	v_add_co_u32 v4, vcc_lo, s12, v4
	v_add_co_ci_u32_e64 v5, null, s13, v5, vcc_lo
	v_cmp_le_i32_e32 vcc_lo, s23, v16
	global_load_dwordx2 v[4:5], v[4:5], off
	s_or_b32 s28, vcc_lo, s28
	s_waitcnt vmcnt(0)
	ds_write_b64 v15, v[4:5]
	v_add_nc_u32_e32 v15, 0x220, v15
	s_andn2_b32 exec_lo, exec_lo, s28
	s_cbranch_execz .LBB17_153
.LBB17_157:                             ;   Parent Loop BB17_151 Depth=1
                                        ;     Parent Loop BB17_154 Depth=2
                                        ; =>    This Inner Loop Header: Depth=3
	s_and_b32 vcc_lo, exec_lo, s5
	s_cbranch_vccz .LBB17_159
; %bb.158:                              ;   in Loop: Header=BB17_157 Depth=3
	v_add_nc_u32_e32 v4, s15, v16
	v_mad_u64_u32 v[4:5], null, v4, s23, v[3:4]
	s_cbranch_execnz .LBB17_156
	s_branch .LBB17_160
	.p2align	6
.LBB17_159:                             ;   in Loop: Header=BB17_157 Depth=3
                                        ; implicit-def: $vgpr4
.LBB17_160:                             ;   in Loop: Header=BB17_157 Depth=3
	v_add_nc_u32_e32 v4, v14, v16
	s_branch .LBB17_156
.LBB17_161:                             ;   in Loop: Header=BB17_151 Depth=1
	s_inst_prefetch 0x2
	s_or_b32 exec_lo, exec_lo, s3
	s_andn2_b32 vcc_lo, exec_lo, s6
	s_waitcnt lgkmcnt(0)
	buffer_gl0_inv
	s_cbranch_vccnz .LBB17_185
; %bb.162:                              ;   in Loop: Header=BB17_151 Depth=1
	s_andn2_b32 vcc_lo, exec_lo, s8
	s_mov_b32 s3, 0
	s_cbranch_vccnz .LBB17_176
; %bb.163:                              ;   in Loop: Header=BB17_151 Depth=1
	v_mov_b32_e32 v3, v11
	v_mov_b32_e32 v4, v10
	;; [unrolled: 1-line block ×4, first 2 shown]
	s_mov_b32 s15, 0
	s_branch .LBB17_165
.LBB17_164:                             ;   in Loop: Header=BB17_165 Depth=2
	s_inst_prefetch 0x2
	s_or_b32 exec_lo, exec_lo, s16
	v_add_nc_u32_e32 v13, 16, v13
	v_add_nc_u32_e32 v5, 0x120, v5
	;; [unrolled: 1-line block ×4, first 2 shown]
	s_add_i32 s15, s15, 2
	s_mov_b32 s3, s9
	s_cmp_eq_u32 s15, s9
	s_cbranch_scc1 .LBB17_176
.LBB17_165:                             ;   Parent Loop BB17_151 Depth=1
                                        ; =>  This Loop Header: Depth=2
                                        ;       Child Loop BB17_168 Depth 3
                                        ;         Child Loop BB17_170 Depth 4
                                        ;       Child Loop BB17_173 Depth 3
                                        ;         Child Loop BB17_175 Depth 4
	s_and_saveexec_b32 s16, s0
	s_cbranch_execz .LBB17_164
; %bb.166:                              ;   in Loop: Header=BB17_165 Depth=2
	v_add_nc_u32_e32 v14, s15, v6
	v_mov_b32_e32 v15, v13
	v_mov_b32_e32 v16, v0
	s_mov_b32 s28, 0
	s_lshl_b32 s17, s15, 3
	v_cmp_gt_i32_e32 vcc_lo, s23, v14
	s_inst_prefetch 0x1
	s_branch .LBB17_168
	.p2align	6
.LBB17_167:                             ;   in Loop: Header=BB17_168 Depth=3
	s_or_b32 exec_lo, exec_lo, s29
	v_add_nc_u32_e32 v16, 16, v16
	v_add_nc_u32_e32 v15, 0x880, v15
	v_cmp_le_i32_e64 s3, s23, v16
	s_or_b32 s28, s3, s28
	s_andn2_b32 exec_lo, exec_lo, s28
	s_cbranch_execz .LBB17_171
.LBB17_168:                             ;   Parent Loop BB17_151 Depth=1
                                        ;     Parent Loop BB17_165 Depth=2
                                        ; =>    This Loop Header: Depth=3
                                        ;         Child Loop BB17_170 Depth 4
	s_and_saveexec_b32 s29, vcc_lo
	s_cbranch_execz .LBB17_167
; %bb.169:                              ;   in Loop: Header=BB17_168 Depth=3
	v_mul_lo_u32 v19, 0x88, v16
	v_mov_b32_e32 v17, v5
	v_mov_b32_e32 v18, v15
	;; [unrolled: 1-line block ×3, first 2 shown]
	s_mov_b32 s30, 0
	v_add3_u32 v19, 0x880, s17, v19
	.p2align	6
.LBB17_170:                             ;   Parent Loop BB17_151 Depth=1
                                        ;     Parent Loop BB17_165 Depth=2
                                        ;       Parent Loop BB17_168 Depth=3
                                        ; =>      This Inner Loop Header: Depth=4
	ds_read_b64 v[21:22], v17
	ds_read_b64 v[23:24], v19
	;; [unrolled: 1-line block ×3, first 2 shown]
	v_add_nc_u32_e32 v20, 4, v20
	v_add_nc_u32_e32 v17, 32, v17
	v_cmp_le_i32_e64 s3, s23, v20
	s_or_b32 s30, s3, s30
	s_waitcnt lgkmcnt(0)
	v_fma_f32 v25, -v21, v23, v25
	v_fma_f32 v23, -v22, v23, v26
	v_fmac_f32_e32 v25, v22, v24
	v_fma_f32 v26, -v21, v24, v23
	ds_write_b64 v18, v[25:26]
	v_add_nc_u32_e32 v18, 32, v18
	s_andn2_b32 exec_lo, exec_lo, s30
	s_cbranch_execnz .LBB17_170
	s_branch .LBB17_167
.LBB17_171:                             ;   in Loop: Header=BB17_165 Depth=2
	s_inst_prefetch 0x2
	s_or_b32 exec_lo, exec_lo, s28
	v_add3_u32 v14, v6, s15, 1
	v_mov_b32_e32 v15, v3
	v_mov_b32_e32 v16, v0
	s_mov_b32 s28, 0
	v_cmp_gt_i32_e32 vcc_lo, s23, v14
	s_inst_prefetch 0x1
	s_branch .LBB17_173
	.p2align	6
.LBB17_172:                             ;   in Loop: Header=BB17_173 Depth=3
	s_or_b32 exec_lo, exec_lo, s29
	v_add_nc_u32_e32 v16, 16, v16
	v_add_nc_u32_e32 v15, 0x880, v15
	v_cmp_le_i32_e64 s3, s23, v16
	s_or_b32 s28, s3, s28
	s_andn2_b32 exec_lo, exec_lo, s28
	s_cbranch_execz .LBB17_164
.LBB17_173:                             ;   Parent Loop BB17_151 Depth=1
                                        ;     Parent Loop BB17_165 Depth=2
                                        ; =>    This Loop Header: Depth=3
                                        ;         Child Loop BB17_175 Depth 4
	s_and_saveexec_b32 s29, vcc_lo
	s_cbranch_execz .LBB17_172
; %bb.174:                              ;   in Loop: Header=BB17_173 Depth=3
	v_mul_lo_u32 v19, 0x88, v16
	v_mov_b32_e32 v17, v15
	v_mov_b32_e32 v18, v4
	;; [unrolled: 1-line block ×3, first 2 shown]
	s_mov_b32 s30, 0
	v_add3_u32 v19, 0x880, s17, v19
	.p2align	6
.LBB17_175:                             ;   Parent Loop BB17_151 Depth=1
                                        ;     Parent Loop BB17_165 Depth=2
                                        ;       Parent Loop BB17_173 Depth=3
                                        ; =>      This Inner Loop Header: Depth=4
	ds_read_b64 v[21:22], v18
	ds_read_b64 v[23:24], v19 offset:8
	ds_read_b64 v[25:26], v17
	v_add_nc_u32_e32 v20, 4, v20
	v_add_nc_u32_e32 v18, 32, v18
	v_cmp_le_i32_e64 s3, s23, v20
	s_or_b32 s30, s3, s30
	s_waitcnt lgkmcnt(0)
	v_fma_f32 v25, -v21, v23, v25
	v_fma_f32 v23, -v22, v23, v26
	v_fmac_f32_e32 v25, v22, v24
	v_fma_f32 v26, -v21, v24, v23
	ds_write_b64 v17, v[25:26]
	v_add_nc_u32_e32 v17, 32, v17
	s_andn2_b32 exec_lo, exec_lo, s30
	s_cbranch_execnz .LBB17_175
	s_branch .LBB17_172
.LBB17_176:                             ;   in Loop: Header=BB17_151 Depth=1
	s_andn2_b32 vcc_lo, exec_lo, s10
	s_mov_b32 s16, -1
	s_cbranch_vccnz .LBB17_186
; %bb.177:                              ;   in Loop: Header=BB17_151 Depth=1
	s_and_saveexec_b32 s15, s1
	s_xor_b32 s15, exec_lo, s15
	s_cbranch_execz .LBB17_179
; %bb.178:                              ;   in Loop: Header=BB17_151 Depth=1
	s_waitcnt lgkmcnt(0)
	buffer_gl0_inv
.LBB17_179:                             ;   in Loop: Header=BB17_151 Depth=1
	s_or_saveexec_b32 s15, s15
	s_mov_b32 s16, 0
	s_xor_b32 exec_lo, exec_lo, s15
	s_cbranch_execz .LBB17_188
; %bb.180:                              ;   in Loop: Header=BB17_151 Depth=1
	v_add_nc_u32_e32 v13, s3, v1
	v_mad_u64_u32 v[3:4], null, 0x90, s3, v[2:3]
	v_add_nc_u32_e32 v5, s3, v6
	s_lshl_b32 s17, s3, 3
	v_lshl_add_u32 v4, v13, 3, v12
	v_mov_b32_e32 v13, v0
	v_cmp_gt_i32_e32 vcc_lo, s23, v5
	s_inst_prefetch 0x1
	s_branch .LBB17_182
	.p2align	6
.LBB17_181:                             ;   in Loop: Header=BB17_182 Depth=2
	s_or_b32 exec_lo, exec_lo, s28
	v_add_nc_u32_e32 v13, 16, v13
	v_add_nc_u32_e32 v4, 0x880, v4
	v_cmp_le_i32_e64 s3, s23, v13
	s_or_b32 s16, s3, s16
	s_andn2_b32 exec_lo, exec_lo, s16
	s_cbranch_execz .LBB17_187
.LBB17_182:                             ;   Parent Loop BB17_151 Depth=1
                                        ; =>  This Loop Header: Depth=2
                                        ;       Child Loop BB17_184 Depth 3
	s_and_saveexec_b32 s28, vcc_lo
	s_cbranch_execz .LBB17_181
; %bb.183:                              ;   in Loop: Header=BB17_182 Depth=2
	v_mul_lo_u32 v16, 0x88, v13
	v_mov_b32_e32 v14, v3
	v_mov_b32_e32 v15, v4
	v_mov_b32_e32 v17, v5
	s_mov_b32 s29, 0
	v_add3_u32 v16, 0x880, s17, v16
	.p2align	6
.LBB17_184:                             ;   Parent Loop BB17_151 Depth=1
                                        ;     Parent Loop BB17_182 Depth=2
                                        ; =>    This Inner Loop Header: Depth=3
	ds_read_b64 v[18:19], v14
	ds_read_b64 v[20:21], v16
	;; [unrolled: 1-line block ×3, first 2 shown]
	v_add_nc_u32_e32 v17, 4, v17
	v_add_nc_u32_e32 v14, 32, v14
	v_cmp_le_i32_e64 s3, s23, v17
	s_or_b32 s29, s3, s29
	s_waitcnt lgkmcnt(0)
	v_fma_f32 v22, -v18, v20, v22
	v_fma_f32 v20, -v19, v20, v23
	v_fmac_f32_e32 v22, v19, v21
	v_fma_f32 v23, -v18, v21, v20
	ds_write_b64 v15, v[22:23]
	v_add_nc_u32_e32 v15, 32, v15
	s_andn2_b32 exec_lo, exec_lo, s29
	s_cbranch_execnz .LBB17_184
	s_branch .LBB17_181
.LBB17_185:                             ;   in Loop: Header=BB17_151 Depth=1
	s_mov_b32 s16, -1
.LBB17_186:                             ;   in Loop: Header=BB17_151 Depth=1
	s_and_saveexec_b32 s3, s16
	s_xor_b32 s15, exec_lo, s3
	s_cbranch_execz .LBB17_150
	s_branch .LBB17_189
.LBB17_187:                             ;   in Loop: Header=BB17_151 Depth=1
	s_inst_prefetch 0x2
	s_or_b32 exec_lo, exec_lo, s16
	s_mov_b32 s16, exec_lo
.LBB17_188:                             ;   in Loop: Header=BB17_151 Depth=1
	s_or_b32 exec_lo, exec_lo, s15
	s_and_saveexec_b32 s3, s16
	s_xor_b32 s15, exec_lo, s3
	s_cbranch_execz .LBB17_150
.LBB17_189:                             ;   in Loop: Header=BB17_151 Depth=1
	s_waitcnt lgkmcnt(0)
	buffer_gl0_inv
	s_and_saveexec_b32 s16, s0
	s_cbranch_execz .LBB17_149
; %bb.190:                              ;   in Loop: Header=BB17_151 Depth=1
	v_mov_b32_e32 v13, v8
	v_mov_b32_e32 v14, v7
	;; [unrolled: 1-line block ×3, first 2 shown]
	s_mul_i32 s17, s4, s23
	s_mov_b32 s28, 0
	s_inst_prefetch 0x1
	s_branch .LBB17_192
	.p2align	6
.LBB17_191:                             ;   in Loop: Header=BB17_192 Depth=2
	s_or_b32 exec_lo, exec_lo, s29
	v_add_nc_u32_e32 v3, 16, v3
	v_add_nc_u32_e32 v14, s14, v14
	;; [unrolled: 1-line block ×3, first 2 shown]
	v_cmp_le_i32_e32 vcc_lo, s23, v3
	s_or_b32 s28, vcc_lo, s28
	s_andn2_b32 exec_lo, exec_lo, s28
	s_cbranch_execz .LBB17_149
.LBB17_192:                             ;   Parent Loop BB17_151 Depth=1
                                        ; =>  This Loop Header: Depth=2
                                        ;       Child Loop BB17_195 Depth 3
	s_and_saveexec_b32 s29, s2
	s_cbranch_execz .LBB17_191
; %bb.193:                              ;   in Loop: Header=BB17_192 Depth=2
	v_mov_b32_e32 v15, v13
	v_mov_b32_e32 v16, v1
	s_mov_b32 s30, 0
	s_branch .LBB17_195
	.p2align	6
.LBB17_194:                             ;   in Loop: Header=BB17_195 Depth=3
	ds_read_b64 v[17:18], v15
	v_ashrrev_i32_e32 v5, 31, v4
	v_add_nc_u32_e32 v16, 4, v16
	v_add_nc_u32_e32 v15, 0x220, v15
	v_lshlrev_b64 v[4:5], 3, v[4:5]
	v_cmp_le_i32_e32 vcc_lo, s23, v16
	s_or_b32 s30, vcc_lo, s30
	v_add_co_u32 v4, s3, s12, v4
	v_add_co_ci_u32_e64 v5, null, s13, v5, s3
	s_waitcnt lgkmcnt(0)
	global_store_dwordx2 v[4:5], v[17:18], off
	s_andn2_b32 exec_lo, exec_lo, s30
	s_cbranch_execz .LBB17_191
.LBB17_195:                             ;   Parent Loop BB17_151 Depth=1
                                        ;     Parent Loop BB17_192 Depth=2
                                        ; =>    This Inner Loop Header: Depth=3
	s_and_b32 vcc_lo, exec_lo, s5
	s_cbranch_vccz .LBB17_197
; %bb.196:                              ;   in Loop: Header=BB17_195 Depth=3
	v_add_nc_u32_e32 v4, s17, v16
	v_mad_u64_u32 v[4:5], null, v4, s23, v[3:4]
	s_cbranch_execnz .LBB17_194
	s_branch .LBB17_198
	.p2align	6
.LBB17_197:                             ;   in Loop: Header=BB17_195 Depth=3
                                        ; implicit-def: $vgpr4
.LBB17_198:                             ;   in Loop: Header=BB17_195 Depth=3
	v_add_nc_u32_e32 v4, v14, v16
	s_branch .LBB17_194
.LBB17_199:
	v_or_b32_e32 v0, v0, v1
	s_mov_b32 s0, exec_lo
	v_cmpx_eq_u32_e32 0, v0
	s_cbranch_execz .LBB17_203
; %bb.200:
	v_mov_b32_e32 v0, 0
	v_mov_b32_e32 v1, 1
	s_add_u32 s0, s20, s26
	s_addc_u32 s1, s21, s27
	s_andn2_b32 vcc_lo, exec_lo, s7
	s_waitcnt vmcnt(0) lgkmcnt(0)
	s_waitcnt_vscnt null, 0x0
	global_store_dword v0, v1, s[0:1]
	s_cbranch_vccnz .LBB17_203
; %bb.201:
	v_mbcnt_lo_u32_b32 v0, exec_lo, 0
	v_cmp_eq_u32_e32 vcc_lo, 0, v0
	s_and_b32 exec_lo, exec_lo, vcc_lo
	s_cbranch_execz .LBB17_203
; %bb.202:
	s_add_i32 s0, s22, s24
	v_mov_b32_e32 v0, 0
	v_mov_b32_e32 v1, s0
	global_atomic_smin v0, v1, s[18:19]
.LBB17_203:
	s_endpgm
	.section	.rodata,"a",@progbits
	.p2align	6, 0x0
	.amdhsa_kernel _ZN9rocsparseL12bsrilu0_9_32ILj64ELj64ELj16E21rocsparse_complex_numIfEEEv20rocsparse_direction_iPKiS5_PT2_S5_iPiS5_S8_21rocsparse_index_base_imNS_24const_host_device_scalarIfEENSA_IdEENSA_IS6_EEb
		.amdhsa_group_segment_fixed_size 4352
		.amdhsa_private_segment_fixed_size 0
		.amdhsa_kernarg_size 116
		.amdhsa_user_sgpr_count 6
		.amdhsa_user_sgpr_private_segment_buffer 1
		.amdhsa_user_sgpr_dispatch_ptr 0
		.amdhsa_user_sgpr_queue_ptr 0
		.amdhsa_user_sgpr_kernarg_segment_ptr 1
		.amdhsa_user_sgpr_dispatch_id 0
		.amdhsa_user_sgpr_flat_scratch_init 0
		.amdhsa_user_sgpr_private_segment_size 0
		.amdhsa_wavefront_size32 1
		.amdhsa_uses_dynamic_stack 0
		.amdhsa_system_sgpr_private_segment_wavefront_offset 0
		.amdhsa_system_sgpr_workgroup_id_x 1
		.amdhsa_system_sgpr_workgroup_id_y 0
		.amdhsa_system_sgpr_workgroup_id_z 0
		.amdhsa_system_sgpr_workgroup_info 0
		.amdhsa_system_vgpr_workitem_id 1
		.amdhsa_next_free_vgpr 35
		.amdhsa_next_free_sgpr 47
		.amdhsa_reserve_vcc 1
		.amdhsa_reserve_flat_scratch 0
		.amdhsa_float_round_mode_32 0
		.amdhsa_float_round_mode_16_64 0
		.amdhsa_float_denorm_mode_32 3
		.amdhsa_float_denorm_mode_16_64 3
		.amdhsa_dx10_clamp 1
		.amdhsa_ieee_mode 1
		.amdhsa_fp16_overflow 0
		.amdhsa_workgroup_processor_mode 1
		.amdhsa_memory_ordered 1
		.amdhsa_forward_progress 1
		.amdhsa_shared_vgpr_count 0
		.amdhsa_exception_fp_ieee_invalid_op 0
		.amdhsa_exception_fp_denorm_src 0
		.amdhsa_exception_fp_ieee_div_zero 0
		.amdhsa_exception_fp_ieee_overflow 0
		.amdhsa_exception_fp_ieee_underflow 0
		.amdhsa_exception_fp_ieee_inexact 0
		.amdhsa_exception_int_div_zero 0
	.end_amdhsa_kernel
	.section	.text._ZN9rocsparseL12bsrilu0_9_32ILj64ELj64ELj16E21rocsparse_complex_numIfEEEv20rocsparse_direction_iPKiS5_PT2_S5_iPiS5_S8_21rocsparse_index_base_imNS_24const_host_device_scalarIfEENSA_IdEENSA_IS6_EEb,"axG",@progbits,_ZN9rocsparseL12bsrilu0_9_32ILj64ELj64ELj16E21rocsparse_complex_numIfEEEv20rocsparse_direction_iPKiS5_PT2_S5_iPiS5_S8_21rocsparse_index_base_imNS_24const_host_device_scalarIfEENSA_IdEENSA_IS6_EEb,comdat
.Lfunc_end17:
	.size	_ZN9rocsparseL12bsrilu0_9_32ILj64ELj64ELj16E21rocsparse_complex_numIfEEEv20rocsparse_direction_iPKiS5_PT2_S5_iPiS5_S8_21rocsparse_index_base_imNS_24const_host_device_scalarIfEENSA_IdEENSA_IS6_EEb, .Lfunc_end17-_ZN9rocsparseL12bsrilu0_9_32ILj64ELj64ELj16E21rocsparse_complex_numIfEEEv20rocsparse_direction_iPKiS5_PT2_S5_iPiS5_S8_21rocsparse_index_base_imNS_24const_host_device_scalarIfEENSA_IdEENSA_IS6_EEb
                                        ; -- End function
	.set _ZN9rocsparseL12bsrilu0_9_32ILj64ELj64ELj16E21rocsparse_complex_numIfEEEv20rocsparse_direction_iPKiS5_PT2_S5_iPiS5_S8_21rocsparse_index_base_imNS_24const_host_device_scalarIfEENSA_IdEENSA_IS6_EEb.num_vgpr, 35
	.set _ZN9rocsparseL12bsrilu0_9_32ILj64ELj64ELj16E21rocsparse_complex_numIfEEEv20rocsparse_direction_iPKiS5_PT2_S5_iPiS5_S8_21rocsparse_index_base_imNS_24const_host_device_scalarIfEENSA_IdEENSA_IS6_EEb.num_agpr, 0
	.set _ZN9rocsparseL12bsrilu0_9_32ILj64ELj64ELj16E21rocsparse_complex_numIfEEEv20rocsparse_direction_iPKiS5_PT2_S5_iPiS5_S8_21rocsparse_index_base_imNS_24const_host_device_scalarIfEENSA_IdEENSA_IS6_EEb.numbered_sgpr, 47
	.set _ZN9rocsparseL12bsrilu0_9_32ILj64ELj64ELj16E21rocsparse_complex_numIfEEEv20rocsparse_direction_iPKiS5_PT2_S5_iPiS5_S8_21rocsparse_index_base_imNS_24const_host_device_scalarIfEENSA_IdEENSA_IS6_EEb.num_named_barrier, 0
	.set _ZN9rocsparseL12bsrilu0_9_32ILj64ELj64ELj16E21rocsparse_complex_numIfEEEv20rocsparse_direction_iPKiS5_PT2_S5_iPiS5_S8_21rocsparse_index_base_imNS_24const_host_device_scalarIfEENSA_IdEENSA_IS6_EEb.private_seg_size, 0
	.set _ZN9rocsparseL12bsrilu0_9_32ILj64ELj64ELj16E21rocsparse_complex_numIfEEEv20rocsparse_direction_iPKiS5_PT2_S5_iPiS5_S8_21rocsparse_index_base_imNS_24const_host_device_scalarIfEENSA_IdEENSA_IS6_EEb.uses_vcc, 1
	.set _ZN9rocsparseL12bsrilu0_9_32ILj64ELj64ELj16E21rocsparse_complex_numIfEEEv20rocsparse_direction_iPKiS5_PT2_S5_iPiS5_S8_21rocsparse_index_base_imNS_24const_host_device_scalarIfEENSA_IdEENSA_IS6_EEb.uses_flat_scratch, 0
	.set _ZN9rocsparseL12bsrilu0_9_32ILj64ELj64ELj16E21rocsparse_complex_numIfEEEv20rocsparse_direction_iPKiS5_PT2_S5_iPiS5_S8_21rocsparse_index_base_imNS_24const_host_device_scalarIfEENSA_IdEENSA_IS6_EEb.has_dyn_sized_stack, 0
	.set _ZN9rocsparseL12bsrilu0_9_32ILj64ELj64ELj16E21rocsparse_complex_numIfEEEv20rocsparse_direction_iPKiS5_PT2_S5_iPiS5_S8_21rocsparse_index_base_imNS_24const_host_device_scalarIfEENSA_IdEENSA_IS6_EEb.has_recursion, 0
	.set _ZN9rocsparseL12bsrilu0_9_32ILj64ELj64ELj16E21rocsparse_complex_numIfEEEv20rocsparse_direction_iPKiS5_PT2_S5_iPiS5_S8_21rocsparse_index_base_imNS_24const_host_device_scalarIfEENSA_IdEENSA_IS6_EEb.has_indirect_call, 0
	.section	.AMDGPU.csdata,"",@progbits
; Kernel info:
; codeLenInByte = 7020
; TotalNumSgprs: 49
; NumVgprs: 35
; ScratchSize: 0
; MemoryBound: 0
; FloatMode: 240
; IeeeMode: 1
; LDSByteSize: 4352 bytes/workgroup (compile time only)
; SGPRBlocks: 0
; VGPRBlocks: 4
; NumSGPRsForWavesPerEU: 49
; NumVGPRsForWavesPerEU: 35
; Occupancy: 15
; WaveLimiterHint : 1
; COMPUTE_PGM_RSRC2:SCRATCH_EN: 0
; COMPUTE_PGM_RSRC2:USER_SGPR: 6
; COMPUTE_PGM_RSRC2:TRAP_HANDLER: 0
; COMPUTE_PGM_RSRC2:TGID_X_EN: 1
; COMPUTE_PGM_RSRC2:TGID_Y_EN: 0
; COMPUTE_PGM_RSRC2:TGID_Z_EN: 0
; COMPUTE_PGM_RSRC2:TIDIG_COMP_CNT: 1
	.section	.text._ZN9rocsparseL12bsrilu0_9_32ILj64ELj64ELj32E21rocsparse_complex_numIfEEEv20rocsparse_direction_iPKiS5_PT2_S5_iPiS5_S8_21rocsparse_index_base_imNS_24const_host_device_scalarIfEENSA_IdEENSA_IS6_EEb,"axG",@progbits,_ZN9rocsparseL12bsrilu0_9_32ILj64ELj64ELj32E21rocsparse_complex_numIfEEEv20rocsparse_direction_iPKiS5_PT2_S5_iPiS5_S8_21rocsparse_index_base_imNS_24const_host_device_scalarIfEENSA_IdEENSA_IS6_EEb,comdat
	.globl	_ZN9rocsparseL12bsrilu0_9_32ILj64ELj64ELj32E21rocsparse_complex_numIfEEEv20rocsparse_direction_iPKiS5_PT2_S5_iPiS5_S8_21rocsparse_index_base_imNS_24const_host_device_scalarIfEENSA_IdEENSA_IS6_EEb ; -- Begin function _ZN9rocsparseL12bsrilu0_9_32ILj64ELj64ELj32E21rocsparse_complex_numIfEEEv20rocsparse_direction_iPKiS5_PT2_S5_iPiS5_S8_21rocsparse_index_base_imNS_24const_host_device_scalarIfEENSA_IdEENSA_IS6_EEb
	.p2align	8
	.type	_ZN9rocsparseL12bsrilu0_9_32ILj64ELj64ELj32E21rocsparse_complex_numIfEEEv20rocsparse_direction_iPKiS5_PT2_S5_iPiS5_S8_21rocsparse_index_base_imNS_24const_host_device_scalarIfEENSA_IdEENSA_IS6_EEb,@function
_ZN9rocsparseL12bsrilu0_9_32ILj64ELj64ELj32E21rocsparse_complex_numIfEEEv20rocsparse_direction_iPKiS5_PT2_S5_iPiS5_S8_21rocsparse_index_base_imNS_24const_host_device_scalarIfEENSA_IdEENSA_IS6_EEb: ; @_ZN9rocsparseL12bsrilu0_9_32ILj64ELj64ELj32E21rocsparse_complex_numIfEEEv20rocsparse_direction_iPKiS5_PT2_S5_iPiS5_S8_21rocsparse_index_base_imNS_24const_host_device_scalarIfEENSA_IdEENSA_IS6_EEb
; %bb.0:
	s_clause 0x2
	s_load_dword s0, s[4:5], 0x70
	s_load_dwordx2 s[24:25], s[4:5], 0x48
	s_load_dwordx8 s[16:23], s[4:5], 0x50
	s_waitcnt lgkmcnt(0)
	s_bitcmp1_b32 s0, 0
	s_cselect_b32 s2, -1, 0
	s_cmp_eq_u32 s25, 0
	s_cselect_b32 s8, -1, 0
	s_cmp_lg_u32 s25, 0
	s_cselect_b32 s3, -1, 0
	s_or_b32 s9, s8, s2
	s_xor_b32 s7, s9, -1
	s_and_b32 s0, s8, exec_lo
	s_cselect_b32 s1, 0, s21
	s_cselect_b32 s0, 0, s20
	s_and_b32 vcc_lo, exec_lo, s9
	s_cbranch_vccnz .LBB18_2
; %bb.1:
	s_load_dword s0, s[18:19], 0x0
	s_waitcnt lgkmcnt(0)
	v_mov_b32_e32 v12, s0
	s_mov_b64 s[0:1], s[20:21]
	v_mov_b32_e32 v3, s1
	v_mov_b32_e32 v2, s0
	s_andn2_b32 vcc_lo, exec_lo, s7
	s_cbranch_vccz .LBB18_3
	s_branch .LBB18_4
.LBB18_2:
	v_cndmask_b32_e64 v12, s18, 0, s8
	v_mov_b32_e32 v3, s1
	v_mov_b32_e32 v2, s0
	s_andn2_b32 vcc_lo, exec_lo, s7
	s_cbranch_vccnz .LBB18_4
.LBB18_3:
	v_mov_b32_e32 v2, s20
	v_mov_b32_e32 v3, s21
	flat_load_dwordx2 v[2:3], v[2:3]
.LBB18_4:
	v_cndmask_b32_e64 v11, 0, 1, s3
	s_mov_b32 s33, 0
	s_andn2_b32 vcc_lo, exec_lo, s3
	s_mov_b32 s38, s33
	s_cbranch_vccnz .LBB18_10
; %bb.5:
	s_xor_b32 s0, s2, -1
	s_mov_b32 s33, s22
	v_cndmask_b32_e64 v4, 0, 1, s0
	s_andn2_b32 vcc_lo, exec_lo, s0
	s_cbranch_vccnz .LBB18_7
; %bb.6:
	s_load_dword s33, s[22:23], 0x0
.LBB18_7:
	v_cmp_ne_u32_e32 vcc_lo, 1, v4
	s_cbranch_vccnz .LBB18_9
; %bb.8:
	s_load_dword s23, s[22:23], 0x4
.LBB18_9:
	s_waitcnt lgkmcnt(0)
	s_mov_b32 s38, s23
.LBB18_10:
	s_clause 0x1
	s_load_dwordx4 s[20:23], s[4:5], 0x30
	s_load_dwordx2 s[18:19], s[4:5], 0x40
	s_mov_b32 s7, 0
	s_lshl_b64 s[0:1], s[6:7], 2
	s_waitcnt lgkmcnt(0)
	s_add_u32 s0, s22, s0
	s_addc_u32 s1, s23, s1
	s_load_dword s22, s[0:1], 0x0
	s_load_dwordx8 s[8:15], s[4:5], 0x8
	s_waitcnt lgkmcnt(0)
	s_ashr_i32 s23, s22, 31
	s_lshl_b64 s[26:27], s[22:23], 2
	s_add_u32 s0, s14, s26
	s_addc_u32 s1, s15, s27
	s_load_dword s28, s[0:1], 0x0
	s_waitcnt lgkmcnt(0)
	s_cmp_eq_u32 s28, -1
	s_cbranch_scc1 .LBB18_107
; %bb.11:
	s_add_u32 s0, s8, s26
	s_addc_u32 s1, s9, s27
	s_load_dwordx2 s[0:1], s[0:1], 0x0
	s_clause 0x1
	s_load_dwordx2 s[30:31], s[4:5], 0x0
	s_load_dword s23, s[4:5], 0x28
	s_waitcnt lgkmcnt(0)
	s_sub_i32 s34, s0, s24
	s_sub_i32 s25, s1, s24
	s_cmp_ge_i32 s34, s28
	s_cbranch_scc1 .LBB18_96
; %bb.12:
	v_lshlrev_b32_e32 v4, 5, v1
	v_mad_u64_u32 v[7:8], null, s23, s34, v[0:1]
	v_lshlrev_b32_e32 v9, 3, v0
	s_cmp_lg_u32 s30, 0
	v_add3_u32 v4, v4, v0, s34
	v_cmp_gt_i32_e64 s0, s23, v0
	v_cmp_le_i32_e64 s1, s23, v0
	v_mad_u32_u24 v14, 0x108, v1, v9
	v_mul_lo_u32 v15, s23, v7
	v_ashrrev_i32_e32 v5, 31, v4
	v_cmp_gt_i32_e64 s2, s23, v1
	v_cmp_eq_u32_e64 s3, 0, v1
	v_add_nc_u32_e32 v13, 1, v1
	v_cmp_gt_i32_e64 s4, s25, v4
	v_lshlrev_b64 v[5:6], 2, v[4:5]
	v_mul_u32_u24_e32 v16, 0x108, v1
	v_add_nc_u32_e32 v17, 0x2100, v14
	v_add_nc_u32_e32 v18, 0x2208, v14
	v_mad_u32_u24 v19, 0x108, v1, 0x108
	v_add_nc_u32_e32 v20, 0x2100, v9
	v_add_co_u32 v5, vcc_lo, s10, v5
	v_add_co_ci_u32_e64 v6, null, s11, v6, vcc_lo
	v_mov_b32_e32 v21, 0
	s_cselect_b32 s29, -1, 0
	s_cmp_gt_i32 s23, 0
	s_mul_i32 s40, s23, s23
	s_cselect_b32 s39, -1, 0
	s_add_i32 s31, s31, 1
	s_lshl_b32 s41, s23, 5
	s_branch .LBB18_15
.LBB18_13:                              ;   in Loop: Header=BB18_15 Depth=1
	s_mov_b32 s7, -1
.LBB18_14:                              ;   in Loop: Header=BB18_15 Depth=1
	s_add_i32 s34, s34, 1
	v_add_nc_u32_e32 v15, s40, v15
	s_cmp_lt_i32 s34, s28
	s_cselect_b32 s6, -1, 0
	s_and_b32 s5, s5, s6
	s_and_b32 vcc_lo, exec_lo, s5
	s_cbranch_vccz .LBB18_96
.LBB18_15:                              ; =>This Loop Header: Depth=1
                                        ;     Child Loop BB18_18 Depth 2
                                        ;       Child Loop BB18_21 Depth 3
                                        ;     Child Loop BB18_27 Depth 2
                                        ;     Child Loop BB18_31 Depth 2
                                        ;       Child Loop BB18_34 Depth 3
                                        ;     Child Loop BB18_41 Depth 2
                                        ;       Child Loop BB18_44 Depth 3
                                        ;         Child Loop BB18_48 Depth 4
                                        ;     Child Loop BB18_52 Depth 2
                                        ;       Child Loop BB18_55 Depth 3
                                        ;     Child Loop BB18_64 Depth 2
                                        ;       Child Loop BB18_69 Depth 3
                                        ;       Child Loop BB18_78 Depth 3
                                        ;         Child Loop BB18_81 Depth 4
                                        ;       Child Loop BB18_87 Depth 3
                                        ;         Child Loop BB18_90 Depth 4
                                        ;           Child Loop BB18_91 Depth 5
	s_ashr_i32 s35, s34, 31
	s_lshl_b64 s[36:37], s[34:35], 2
	s_add_u32 s36, s10, s36
	s_addc_u32 s37, s11, s37
	global_load_dword v7, v21, s[36:37]
	s_waitcnt vmcnt(0)
	v_readfirstlane_b32 s5, v7
	s_and_saveexec_b32 s6, s0
	s_cbranch_execz .LBB18_25
; %bb.16:                               ;   in Loop: Header=BB18_15 Depth=1
	v_mov_b32_e32 v10, v17
	v_mov_b32_e32 v22, v15
	;; [unrolled: 1-line block ×3, first 2 shown]
	s_mul_i32 s35, s34, s23
	s_mov_b32 s36, 0
	s_inst_prefetch 0x1
	s_branch .LBB18_18
	.p2align	6
.LBB18_17:                              ;   in Loop: Header=BB18_18 Depth=2
	s_or_b32 exec_lo, exec_lo, s37
	v_add_nc_u32_e32 v7, 32, v7
	v_add_nc_u32_e32 v22, s41, v22
	;; [unrolled: 1-line block ×3, first 2 shown]
	v_cmp_le_i32_e32 vcc_lo, s23, v7
	s_or_b32 s36, vcc_lo, s36
	s_andn2_b32 exec_lo, exec_lo, s36
	s_cbranch_execz .LBB18_25
.LBB18_18:                              ;   Parent Loop BB18_15 Depth=1
                                        ; =>  This Loop Header: Depth=2
                                        ;       Child Loop BB18_21 Depth 3
	s_and_saveexec_b32 s37, s2
	s_cbranch_execz .LBB18_17
; %bb.19:                               ;   in Loop: Header=BB18_18 Depth=2
	v_mov_b32_e32 v23, v10
	v_mov_b32_e32 v24, v1
	s_mov_b32 s42, 0
	s_branch .LBB18_21
	.p2align	6
.LBB18_20:                              ;   in Loop: Header=BB18_21 Depth=3
	v_ashrrev_i32_e32 v9, 31, v8
	v_add_nc_u32_e32 v24, 2, v24
	v_lshlrev_b64 v[8:9], 3, v[8:9]
	v_add_co_u32 v8, vcc_lo, s12, v8
	v_add_co_ci_u32_e64 v9, null, s13, v9, vcc_lo
	v_cmp_le_i32_e32 vcc_lo, s23, v24
	global_load_dwordx2 v[8:9], v[8:9], off
	s_or_b32 s42, vcc_lo, s42
	s_waitcnt vmcnt(0)
	ds_write_b64 v23, v[8:9]
	v_add_nc_u32_e32 v23, 0x210, v23
	s_andn2_b32 exec_lo, exec_lo, s42
	s_cbranch_execz .LBB18_17
.LBB18_21:                              ;   Parent Loop BB18_15 Depth=1
                                        ;     Parent Loop BB18_18 Depth=2
                                        ; =>    This Inner Loop Header: Depth=3
	s_and_b32 vcc_lo, exec_lo, s29
	s_cbranch_vccz .LBB18_23
; %bb.22:                               ;   in Loop: Header=BB18_21 Depth=3
	v_add_nc_u32_e32 v8, s35, v24
	v_mad_u64_u32 v[8:9], null, v8, s23, v[7:8]
	s_cbranch_execnz .LBB18_20
	s_branch .LBB18_24
	.p2align	6
.LBB18_23:                              ;   in Loop: Header=BB18_21 Depth=3
                                        ; implicit-def: $vgpr8
.LBB18_24:                              ;   in Loop: Header=BB18_21 Depth=3
	v_add_nc_u32_e32 v8, v22, v24
	s_branch .LBB18_20
.LBB18_25:                              ;   in Loop: Header=BB18_15 Depth=1
	s_inst_prefetch 0x2
	s_or_b32 exec_lo, exec_lo, s6
	s_sub_i32 s36, s5, s24
	s_ashr_i32 s37, s36, 31
	s_lshl_b64 s[36:37], s[36:37], 2
	s_add_u32 s42, s14, s36
	s_addc_u32 s43, s15, s37
	global_load_dword v7, v21, s[42:43]
	s_waitcnt vmcnt(0)
	v_cmp_eq_u32_e32 vcc_lo, -1, v7
	v_readfirstlane_b32 s35, v7
	v_cmp_ne_u32_e64 s5, -1, v7
	s_cbranch_vccnz .LBB18_13
; %bb.26:                               ;   in Loop: Header=BB18_15 Depth=1
	s_add_u32 s42, s8, s36
	s_addc_u32 s43, s9, s37
	s_add_u32 s36, s20, s36
	global_load_dword v7, v21, s[42:43] offset:4
	s_addc_u32 s37, s21, s37
	s_waitcnt vmcnt(0)
	v_readfirstlane_b32 s42, v7
.LBB18_27:                              ;   Parent Loop BB18_15 Depth=1
                                        ; =>  This Inner Loop Header: Depth=2
	global_load_dword v7, v21, s[36:37] glc dlc
	s_waitcnt vmcnt(0)
	v_cmp_eq_u32_e32 vcc_lo, 0, v7
	s_cbranch_vccnz .LBB18_27
; %bb.28:                               ;   in Loop: Header=BB18_15 Depth=1
	s_waitcnt lgkmcnt(0)
	buffer_gl1_inv
	buffer_gl0_inv
	s_and_saveexec_b32 s6, s0
	s_cbranch_execz .LBB18_38
; %bb.29:                               ;   in Loop: Header=BB18_15 Depth=1
	s_mul_i32 s36, s35, s23
	v_mov_b32_e32 v22, v14
	v_add_nc_u32_e32 v7, s36, v0
	s_mov_b32 s37, 0
	v_mul_lo_u32 v10, s23, v7
	v_mov_b32_e32 v7, v0
	s_inst_prefetch 0x1
	s_branch .LBB18_31
	.p2align	6
.LBB18_30:                              ;   in Loop: Header=BB18_31 Depth=2
	s_or_b32 exec_lo, exec_lo, s43
	v_add_nc_u32_e32 v7, 32, v7
	v_add_nc_u32_e32 v10, s41, v10
	v_add_nc_u32_e32 v22, 0x100, v22
	v_cmp_le_i32_e32 vcc_lo, s23, v7
	s_or_b32 s37, vcc_lo, s37
	s_andn2_b32 exec_lo, exec_lo, s37
	s_cbranch_execz .LBB18_38
.LBB18_31:                              ;   Parent Loop BB18_15 Depth=1
                                        ; =>  This Loop Header: Depth=2
                                        ;       Child Loop BB18_34 Depth 3
	s_and_saveexec_b32 s43, s2
	s_cbranch_execz .LBB18_30
; %bb.32:                               ;   in Loop: Header=BB18_31 Depth=2
	v_mov_b32_e32 v23, v22
	v_mov_b32_e32 v24, v1
	s_mov_b32 s44, 0
	s_branch .LBB18_34
	.p2align	6
.LBB18_33:                              ;   in Loop: Header=BB18_34 Depth=3
	v_ashrrev_i32_e32 v9, 31, v8
	v_add_nc_u32_e32 v24, 2, v24
	v_lshlrev_b64 v[8:9], 3, v[8:9]
	v_add_co_u32 v8, vcc_lo, s12, v8
	v_add_co_ci_u32_e64 v9, null, s13, v9, vcc_lo
	v_cmp_le_i32_e32 vcc_lo, s23, v24
	global_load_dwordx2 v[8:9], v[8:9], off
	s_or_b32 s44, vcc_lo, s44
	s_waitcnt vmcnt(0)
	ds_write_b64 v23, v[8:9]
	v_add_nc_u32_e32 v23, 0x210, v23
	s_andn2_b32 exec_lo, exec_lo, s44
	s_cbranch_execz .LBB18_30
.LBB18_34:                              ;   Parent Loop BB18_15 Depth=1
                                        ;     Parent Loop BB18_31 Depth=2
                                        ; =>    This Inner Loop Header: Depth=3
	s_and_b32 vcc_lo, exec_lo, s29
	s_cbranch_vccz .LBB18_36
; %bb.35:                               ;   in Loop: Header=BB18_34 Depth=3
	v_add_nc_u32_e32 v8, s36, v24
	v_mad_u64_u32 v[8:9], null, v8, s23, v[7:8]
	s_cbranch_execnz .LBB18_33
	s_branch .LBB18_37
	.p2align	6
.LBB18_36:                              ;   in Loop: Header=BB18_34 Depth=3
                                        ; implicit-def: $vgpr8
.LBB18_37:                              ;   in Loop: Header=BB18_34 Depth=3
	v_add_nc_u32_e32 v8, v10, v24
	s_branch .LBB18_33
.LBB18_38:                              ;   in Loop: Header=BB18_15 Depth=1
	s_inst_prefetch 0x2
	s_or_b32 exec_lo, exec_lo, s6
	s_andn2_b32 vcc_lo, exec_lo, s39
	s_waitcnt lgkmcnt(0)
	buffer_gl0_inv
	s_cbranch_vccnz .LBB18_49
; %bb.39:                               ;   in Loop: Header=BB18_15 Depth=1
	v_mov_b32_e32 v22, v19
	v_mov_b32_e32 v23, v18
	s_mov_b32 s36, 0
	s_branch .LBB18_41
.LBB18_40:                              ;   in Loop: Header=BB18_41 Depth=2
	s_or_b32 exec_lo, exec_lo, s37
	v_add_nc_u32_e32 v23, 0x108, v23
	v_add_nc_u32_e32 v22, 0x110, v22
	s_add_i32 s36, s36, 1
	s_waitcnt lgkmcnt(0)
	buffer_gl0_inv
	s_cmp_eq_u32 s36, s23
	s_cbranch_scc1 .LBB18_49
.LBB18_41:                              ;   Parent Loop BB18_15 Depth=1
                                        ; =>  This Loop Header: Depth=2
                                        ;       Child Loop BB18_44 Depth 3
                                        ;         Child Loop BB18_48 Depth 4
	s_and_saveexec_b32 s37, s0
	s_cbranch_execz .LBB18_40
; %bb.42:                               ;   in Loop: Header=BB18_41 Depth=2
	s_mul_i32 s43, s36, 0x108
	s_lshl_b32 s6, s36, 3
	s_mov_b32 s44, 0
	s_add_i32 s6, s43, s6
	s_addk_i32 s43, 0x2100
	v_mov_b32_e32 v7, s6
	ds_read_b64 v[7:8], v7
	s_waitcnt lgkmcnt(0)
	v_mul_f32_e32 v9, v8, v8
	v_fmac_f32_e32 v9, v7, v7
	v_div_scale_f32 v10, null, v9, v9, 1.0
	v_div_scale_f32 v26, vcc_lo, 1.0, v9, 1.0
	v_rcp_f32_e32 v25, v10
	v_fma_f32 v24, -v10, v25, 1.0
	v_fmac_f32_e32 v25, v24, v25
	v_mul_f32_e32 v27, v26, v25
	v_fma_f32 v24, -v10, v27, v26
	v_fmac_f32_e32 v27, v24, v25
	v_add_nc_u32_e32 v24, s36, v13
	v_fma_f32 v10, -v10, v27, v26
	v_div_fmas_f32 v10, v10, v25, v27
	v_mov_b32_e32 v25, v23
	v_mov_b32_e32 v27, v0
	v_cmp_gt_i32_e32 vcc_lo, s23, v24
	v_div_fixup_f32 v26, v10, v9, 1.0
	s_branch .LBB18_44
.LBB18_43:                              ;   in Loop: Header=BB18_44 Depth=3
	s_or_b32 exec_lo, exec_lo, s45
	v_add_nc_u32_e32 v27, 32, v27
	v_add_nc_u32_e32 v25, 0x100, v25
	v_cmp_le_i32_e64 s6, s23, v27
	s_or_b32 s44, s6, s44
	s_andn2_b32 exec_lo, exec_lo, s44
	s_cbranch_execz .LBB18_40
.LBB18_44:                              ;   Parent Loop BB18_15 Depth=1
                                        ;     Parent Loop BB18_41 Depth=2
                                        ; =>    This Loop Header: Depth=3
                                        ;         Child Loop BB18_48 Depth 4
	v_lshl_add_u32 v28, v27, 3, s43
	ds_read_b64 v[9:10], v28
	s_waitcnt lgkmcnt(0)
	buffer_gl0_inv
	v_mul_f32_e32 v29, v8, v10
	v_mul_f32_e64 v30, v8, -v9
	v_fmac_f32_e32 v29, v9, v7
	v_fmac_f32_e32 v30, v10, v7
	v_mul_f32_e32 v9, v26, v29
	v_mul_f32_e32 v10, v26, v30
	s_and_saveexec_b32 s6, s3
; %bb.45:                               ;   in Loop: Header=BB18_44 Depth=3
	ds_write_b64 v28, v[9:10]
; %bb.46:                               ;   in Loop: Header=BB18_44 Depth=3
	s_or_b32 exec_lo, exec_lo, s6
	s_and_saveexec_b32 s45, vcc_lo
	s_cbranch_execz .LBB18_43
; %bb.47:                               ;   in Loop: Header=BB18_44 Depth=3
	v_mov_b32_e32 v28, v22
	v_mov_b32_e32 v29, v25
	v_mov_b32_e32 v30, v24
	s_mov_b32 s46, 0
	.p2align	6
.LBB18_48:                              ;   Parent Loop BB18_15 Depth=1
                                        ;     Parent Loop BB18_41 Depth=2
                                        ;       Parent Loop BB18_44 Depth=3
                                        ; =>      This Inner Loop Header: Depth=4
	ds_read_b64 v[31:32], v28
	ds_read_b64 v[33:34], v29
	v_add_nc_u32_e32 v30, 2, v30
	v_add_nc_u32_e32 v28, 0x210, v28
	v_cmp_le_i32_e64 s6, s23, v30
	s_or_b32 s46, s6, s46
	s_waitcnt lgkmcnt(0)
	v_fma_f32 v33, -v9, v31, v33
	v_fma_f32 v31, -v10, v31, v34
	v_fmac_f32_e32 v33, v10, v32
	v_fma_f32 v34, -v9, v32, v31
	ds_write_b64 v29, v[33:34]
	v_add_nc_u32_e32 v29, 0x210, v29
	s_andn2_b32 exec_lo, exec_lo, s46
	s_cbranch_execnz .LBB18_48
	s_branch .LBB18_43
.LBB18_49:                              ;   in Loop: Header=BB18_15 Depth=1
	s_and_saveexec_b32 s36, s0
	s_cbranch_execz .LBB18_59
; %bb.50:                               ;   in Loop: Header=BB18_15 Depth=1
	v_mov_b32_e32 v10, v17
	v_mov_b32_e32 v22, v15
	;; [unrolled: 1-line block ×3, first 2 shown]
	s_mul_i32 s37, s34, s23
	s_mov_b32 s43, 0
	s_inst_prefetch 0x1
	s_branch .LBB18_52
	.p2align	6
.LBB18_51:                              ;   in Loop: Header=BB18_52 Depth=2
	s_or_b32 exec_lo, exec_lo, s44
	v_add_nc_u32_e32 v7, 32, v7
	v_add_nc_u32_e32 v22, s41, v22
	;; [unrolled: 1-line block ×3, first 2 shown]
	v_cmp_le_i32_e32 vcc_lo, s23, v7
	s_or_b32 s43, vcc_lo, s43
	s_andn2_b32 exec_lo, exec_lo, s43
	s_cbranch_execz .LBB18_59
.LBB18_52:                              ;   Parent Loop BB18_15 Depth=1
                                        ; =>  This Loop Header: Depth=2
                                        ;       Child Loop BB18_55 Depth 3
	s_and_saveexec_b32 s44, s2
	s_cbranch_execz .LBB18_51
; %bb.53:                               ;   in Loop: Header=BB18_52 Depth=2
	v_mov_b32_e32 v23, v10
	v_mov_b32_e32 v24, v1
	s_mov_b32 s45, 0
	s_branch .LBB18_55
	.p2align	6
.LBB18_54:                              ;   in Loop: Header=BB18_55 Depth=3
	ds_read_b64 v[25:26], v23
	v_ashrrev_i32_e32 v9, 31, v8
	v_add_nc_u32_e32 v24, 2, v24
	v_add_nc_u32_e32 v23, 0x210, v23
	v_lshlrev_b64 v[8:9], 3, v[8:9]
	v_cmp_le_i32_e32 vcc_lo, s23, v24
	s_or_b32 s45, vcc_lo, s45
	v_add_co_u32 v8, s6, s12, v8
	v_add_co_ci_u32_e64 v9, null, s13, v9, s6
	s_waitcnt lgkmcnt(0)
	global_store_dwordx2 v[8:9], v[25:26], off
	s_andn2_b32 exec_lo, exec_lo, s45
	s_cbranch_execz .LBB18_51
.LBB18_55:                              ;   Parent Loop BB18_15 Depth=1
                                        ;     Parent Loop BB18_52 Depth=2
                                        ; =>    This Inner Loop Header: Depth=3
	s_and_b32 vcc_lo, exec_lo, s29
	s_cbranch_vccz .LBB18_57
; %bb.56:                               ;   in Loop: Header=BB18_55 Depth=3
	v_add_nc_u32_e32 v8, s37, v24
	v_mad_u64_u32 v[8:9], null, v8, s23, v[7:8]
	s_cbranch_execnz .LBB18_54
	s_branch .LBB18_58
	.p2align	6
.LBB18_57:                              ;   in Loop: Header=BB18_55 Depth=3
                                        ; implicit-def: $vgpr8
.LBB18_58:                              ;   in Loop: Header=BB18_55 Depth=3
	v_add_nc_u32_e32 v8, v22, v24
	s_branch .LBB18_54
.LBB18_59:                              ;   in Loop: Header=BB18_15 Depth=1
	s_inst_prefetch 0x2
	s_or_b32 exec_lo, exec_lo, s36
	s_sub_i32 s6, s42, s24
	s_add_i32 s36, s35, 1
	s_cmp_ge_i32 s36, s6
	s_cbranch_scc1 .LBB18_14
; %bb.60:                               ;   in Loop: Header=BB18_15 Depth=1
	v_mad_u64_u32 v[7:8], null, s23, s36, v[0:1]
	v_mul_lo_u32 v10, s23, v7
	s_branch .LBB18_64
.LBB18_61:                              ;   in Loop: Header=BB18_64 Depth=2
	s_or_b32 exec_lo, exec_lo, s37
.LBB18_62:                              ;   in Loop: Header=BB18_64 Depth=2
	s_or_b32 exec_lo, exec_lo, s35
.LBB18_63:                              ;   in Loop: Header=BB18_64 Depth=2
	v_add_nc_u32_e32 v10, s40, v10
	s_add_i32 s36, s36, 1
	s_waitcnt lgkmcnt(0)
	s_waitcnt_vscnt null, 0x0
	buffer_gl0_inv
	s_cmp_lt_i32 s36, s6
	s_cbranch_scc0 .LBB18_14
.LBB18_64:                              ;   Parent Loop BB18_15 Depth=1
                                        ; =>  This Loop Header: Depth=2
                                        ;       Child Loop BB18_69 Depth 3
                                        ;       Child Loop BB18_78 Depth 3
                                        ;         Child Loop BB18_81 Depth 4
                                        ;       Child Loop BB18_87 Depth 3
                                        ;         Child Loop BB18_90 Depth 4
                                        ;           Child Loop BB18_91 Depth 5
	s_ashr_i32 s37, s36, 31
	v_mov_b32_e32 v8, s31
	s_lshl_b64 s[42:43], s[36:37], 2
	s_add_u32 s42, s10, s42
	s_addc_u32 s43, s11, s43
	global_load_dword v7, v21, s[42:43]
	s_and_saveexec_b32 s35, s4
	s_cbranch_execz .LBB18_66
; %bb.65:                               ;   in Loop: Header=BB18_64 Depth=2
	global_load_dword v8, v[5:6], off
	s_waitcnt vmcnt(0)
	v_subrev_nc_u32_e32 v8, s24, v8
.LBB18_66:                              ;   in Loop: Header=BB18_64 Depth=2
	s_or_b32 exec_lo, exec_lo, s35
	s_waitcnt vmcnt(0)
	v_subrev_nc_u32_e32 v9, s24, v7
	v_mov_b32_e32 v22, v4
	s_mov_b32 s35, exec_lo
	v_cmpx_lt_i32_e64 v8, v9
	s_cbranch_execz .LBB18_72
; %bb.67:                               ;   in Loop: Header=BB18_64 Depth=2
	v_mov_b32_e32 v7, v4
	s_mov_b32 s37, 0
	s_branch .LBB18_69
	.p2align	6
.LBB18_68:                              ;   in Loop: Header=BB18_69 Depth=3
	s_or_b32 exec_lo, exec_lo, s42
	v_cmp_ge_i32_e32 vcc_lo, v8, v9
	v_mov_b32_e32 v7, v22
	s_or_b32 s37, vcc_lo, s37
	s_andn2_b32 exec_lo, exec_lo, s37
	s_cbranch_execz .LBB18_71
.LBB18_69:                              ;   Parent Loop BB18_15 Depth=1
                                        ;     Parent Loop BB18_64 Depth=2
                                        ; =>    This Inner Loop Header: Depth=3
	v_add_nc_u32_e32 v22, 64, v7
	v_mov_b32_e32 v8, s31
	s_mov_b32 s42, exec_lo
	v_cmpx_gt_i32_e64 s25, v22
	s_cbranch_execz .LBB18_68
; %bb.70:                               ;   in Loop: Header=BB18_69 Depth=3
	v_ashrrev_i32_e32 v8, 31, v7
	v_lshlrev_b64 v[7:8], 2, v[7:8]
	v_add_co_u32 v7, vcc_lo, s10, v7
	v_add_co_ci_u32_e64 v8, null, s11, v8, vcc_lo
	global_load_dword v7, v[7:8], off offset:256
	s_waitcnt vmcnt(0)
	v_subrev_nc_u32_e32 v8, s24, v7
	s_branch .LBB18_68
.LBB18_71:                              ;   in Loop: Header=BB18_64 Depth=2
	s_or_b32 exec_lo, exec_lo, s37
.LBB18_72:                              ;   in Loop: Header=BB18_64 Depth=2
	s_or_b32 exec_lo, exec_lo, s35
	v_cmp_eq_u32_e32 vcc_lo, v8, v9
	s_cbranch_vccz .LBB18_63
; %bb.73:                               ;   in Loop: Header=BB18_64 Depth=2
	s_ff1_i32_b32 s35, vcc_lo
	s_lshl_b32 s35, s35, 2
	v_mov_b32_e32 v7, s35
	ds_bpermute_b32 v22, v7, v22
	s_and_saveexec_b32 s35, s1
	s_xor_b32 s35, exec_lo, s35
	s_cbranch_execz .LBB18_75
; %bb.74:                               ;   in Loop: Header=BB18_64 Depth=2
	s_waitcnt lgkmcnt(0)
	s_waitcnt_vscnt null, 0x0
	buffer_gl0_inv
                                        ; implicit-def: $vgpr22
.LBB18_75:                              ;   in Loop: Header=BB18_64 Depth=2
	s_andn2_saveexec_b32 s35, s35
	s_cbranch_execz .LBB18_62
; %bb.76:                               ;   in Loop: Header=BB18_64 Depth=2
	v_mov_b32_e32 v23, v14
	v_mov_b32_e32 v24, v10
	;; [unrolled: 1-line block ×3, first 2 shown]
	s_mul_i32 s42, s36, s23
	s_mov_b32 s37, 0
	s_inst_prefetch 0x1
	s_branch .LBB18_78
	.p2align	6
.LBB18_77:                              ;   in Loop: Header=BB18_78 Depth=3
	s_or_b32 exec_lo, exec_lo, s43
	v_add_nc_u32_e32 v7, 32, v7
	v_add_nc_u32_e32 v24, s41, v24
	;; [unrolled: 1-line block ×3, first 2 shown]
	v_cmp_le_i32_e32 vcc_lo, s23, v7
	s_or_b32 s37, vcc_lo, s37
	s_andn2_b32 exec_lo, exec_lo, s37
	s_cbranch_execz .LBB18_85
.LBB18_78:                              ;   Parent Loop BB18_15 Depth=1
                                        ;     Parent Loop BB18_64 Depth=2
                                        ; =>    This Loop Header: Depth=3
                                        ;         Child Loop BB18_81 Depth 4
	s_and_saveexec_b32 s43, s2
	s_cbranch_execz .LBB18_77
; %bb.79:                               ;   in Loop: Header=BB18_78 Depth=3
	v_mov_b32_e32 v25, v23
	v_mov_b32_e32 v26, v1
	s_mov_b32 s44, 0
	s_branch .LBB18_81
	.p2align	6
.LBB18_80:                              ;   in Loop: Header=BB18_81 Depth=4
	v_ashrrev_i32_e32 v9, 31, v8
	v_add_nc_u32_e32 v26, 2, v26
	v_lshlrev_b64 v[8:9], 3, v[8:9]
	v_add_co_u32 v8, vcc_lo, s12, v8
	v_add_co_ci_u32_e64 v9, null, s13, v9, vcc_lo
	v_cmp_le_i32_e32 vcc_lo, s23, v26
	global_load_dwordx2 v[8:9], v[8:9], off
	s_or_b32 s44, vcc_lo, s44
	s_waitcnt vmcnt(0)
	ds_write_b64 v25, v[8:9]
	v_add_nc_u32_e32 v25, 0x210, v25
	s_andn2_b32 exec_lo, exec_lo, s44
	s_cbranch_execz .LBB18_77
.LBB18_81:                              ;   Parent Loop BB18_15 Depth=1
                                        ;     Parent Loop BB18_64 Depth=2
                                        ;       Parent Loop BB18_78 Depth=3
                                        ; =>      This Inner Loop Header: Depth=4
	s_and_b32 vcc_lo, exec_lo, s29
	s_cbranch_vccz .LBB18_83
; %bb.82:                               ;   in Loop: Header=BB18_81 Depth=4
	v_add_nc_u32_e32 v8, s42, v26
	v_mad_u64_u32 v[8:9], null, v8, s23, v[7:8]
	s_cbranch_execnz .LBB18_80
	s_branch .LBB18_84
	.p2align	6
.LBB18_83:                              ;   in Loop: Header=BB18_81 Depth=4
                                        ; implicit-def: $vgpr8
.LBB18_84:                              ;   in Loop: Header=BB18_81 Depth=4
	v_add_nc_u32_e32 v8, v24, v26
	s_branch .LBB18_80
.LBB18_85:                              ;   in Loop: Header=BB18_64 Depth=2
	s_inst_prefetch 0x2
	s_or_b32 exec_lo, exec_lo, s37
	s_waitcnt lgkmcnt(0)
	v_mul_lo_u32 v22, v22, s23
	v_mov_b32_e32 v23, v20
	v_mov_b32_e32 v7, v0
	s_mov_b32 s37, 0
	s_waitcnt_vscnt null, 0x0
	buffer_gl0_inv
	s_branch .LBB18_87
.LBB18_86:                              ;   in Loop: Header=BB18_87 Depth=3
	s_or_b32 exec_lo, exec_lo, s42
	v_add_nc_u32_e32 v7, 32, v7
	v_add_nc_u32_e32 v23, 0x100, v23
	v_cmp_le_i32_e32 vcc_lo, s23, v7
	s_or_b32 s37, vcc_lo, s37
	s_andn2_b32 exec_lo, exec_lo, s37
	s_cbranch_execz .LBB18_61
.LBB18_87:                              ;   Parent Loop BB18_15 Depth=1
                                        ;     Parent Loop BB18_64 Depth=2
                                        ; =>    This Loop Header: Depth=3
                                        ;         Child Loop BB18_90 Depth 4
                                        ;           Child Loop BB18_91 Depth 5
	s_and_saveexec_b32 s42, s2
	s_cbranch_execz .LBB18_86
; %bb.88:                               ;   in Loop: Header=BB18_87 Depth=3
	v_add_nc_u32_e32 v8, v7, v22
	v_mov_b32_e32 v25, v16
	v_mov_b32_e32 v26, v1
	s_mov_b32 s43, 0
	v_mul_lo_u32 v24, v8, s23
	s_branch .LBB18_90
.LBB18_89:                              ;   in Loop: Header=BB18_90 Depth=4
	v_ashrrev_i32_e32 v9, 31, v8
	v_add_nc_u32_e32 v26, 2, v26
	v_add_nc_u32_e32 v25, 0x210, v25
	v_lshlrev_b64 v[8:9], 3, v[8:9]
	v_add_co_u32 v8, vcc_lo, s12, v8
	v_add_co_ci_u32_e64 v9, null, s13, v9, vcc_lo
	v_cmp_le_i32_e32 vcc_lo, s23, v26
	global_load_dwordx2 v[29:30], v[8:9], off
	s_or_b32 s43, vcc_lo, s43
	s_waitcnt vmcnt(0)
	v_sub_f32_e32 v27, v29, v27
	v_sub_f32_e32 v28, v30, v28
	global_store_dwordx2 v[8:9], v[27:28], off
	s_andn2_b32 exec_lo, exec_lo, s43
	s_cbranch_execz .LBB18_86
.LBB18_90:                              ;   Parent Loop BB18_15 Depth=1
                                        ;     Parent Loop BB18_64 Depth=2
                                        ;       Parent Loop BB18_87 Depth=3
                                        ; =>      This Loop Header: Depth=4
                                        ;           Child Loop BB18_91 Depth 5
	v_mov_b32_e32 v27, 0
	v_mov_b32_e32 v8, v23
	;; [unrolled: 1-line block ×4, first 2 shown]
	s_mov_b32 s44, s23
.LBB18_91:                              ;   Parent Loop BB18_15 Depth=1
                                        ;     Parent Loop BB18_64 Depth=2
                                        ;       Parent Loop BB18_87 Depth=3
                                        ;         Parent Loop BB18_90 Depth=4
                                        ; =>        This Inner Loop Header: Depth=5
	ds_read_b64 v[29:30], v8
	ds_read_b64 v[31:32], v9
	v_add_nc_u32_e32 v9, 8, v9
	v_add_nc_u32_e32 v8, 0x108, v8
	s_add_i32 s44, s44, -1
	s_cmp_eq_u32 s44, 0
	s_waitcnt lgkmcnt(0)
	v_fmac_f32_e32 v27, v29, v31
	v_fmac_f32_e32 v28, v30, v31
	v_fma_f32 v27, -v30, v32, v27
	v_fmac_f32_e32 v28, v29, v32
	s_cbranch_scc0 .LBB18_91
; %bb.92:                               ;   in Loop: Header=BB18_90 Depth=4
	s_and_b32 vcc_lo, exec_lo, s29
	s_cbranch_vccz .LBB18_94
; %bb.93:                               ;   in Loop: Header=BB18_90 Depth=4
	v_add_nc_u32_e32 v8, v26, v22
	v_mad_u64_u32 v[8:9], null, v8, s23, v[7:8]
	s_cbranch_execnz .LBB18_89
	s_branch .LBB18_95
.LBB18_94:                              ;   in Loop: Header=BB18_90 Depth=4
                                        ; implicit-def: $vgpr8
.LBB18_95:                              ;   in Loop: Header=BB18_90 Depth=4
	v_add_nc_u32_e32 v8, v26, v24
	s_branch .LBB18_89
.LBB18_96:
	s_ashr_i32 s29, s28, 31
	v_mov_b32_e32 v4, 0
	s_lshl_b64 s[0:1], s[28:29], 2
	s_add_u32 s0, s10, s0
	s_addc_u32 s1, s11, s1
	global_load_dword v4, v4, s[0:1]
	s_waitcnt vmcnt(0)
	v_subrev_nc_u32_e32 v4, s24, v4
	v_cmp_ne_u32_e32 vcc_lo, s22, v4
	s_cbranch_vccnz .LBB18_147
; %bb.97:
	v_cmp_gt_i32_e64 s0, s23, v0
	s_and_saveexec_b32 s2, s0
	s_cbranch_execz .LBB18_108
; %bb.98:
	s_mul_i32 s3, s28, s23
	v_lshlrev_b32_e32 v5, 3, v0
	v_add_nc_u32_e32 v4, s3, v0
	v_cmp_gt_u32_e64 s1, s23, v1
	s_cmp_lg_u32 s30, 0
	s_mov_b32 s4, 0
	v_mad_u32_u24 v8, 0x108, v1, v5
	v_mul_lo_u32 v7, s23, v4
	v_mov_b32_e32 v4, v0
	s_cselect_b32 s5, -1, 0
	s_lshl_b32 s6, s23, 5
	s_inst_prefetch 0x1
	s_branch .LBB18_100
	.p2align	6
.LBB18_99:                              ;   in Loop: Header=BB18_100 Depth=1
	s_or_b32 exec_lo, exec_lo, s8
	v_add_nc_u32_e32 v4, 32, v4
	v_add_nc_u32_e32 v7, s6, v7
	;; [unrolled: 1-line block ×3, first 2 shown]
	v_cmp_le_i32_e32 vcc_lo, s23, v4
	s_or_b32 s4, vcc_lo, s4
	s_andn2_b32 exec_lo, exec_lo, s4
	s_cbranch_execz .LBB18_108
.LBB18_100:                             ; =>This Loop Header: Depth=1
                                        ;     Child Loop BB18_103 Depth 2
	s_and_saveexec_b32 s8, s1
	s_cbranch_execz .LBB18_99
; %bb.101:                              ;   in Loop: Header=BB18_100 Depth=1
	v_mov_b32_e32 v9, v8
	v_mov_b32_e32 v10, v1
	s_mov_b32 s9, 0
	s_branch .LBB18_103
	.p2align	6
.LBB18_102:                             ;   in Loop: Header=BB18_103 Depth=2
	v_ashrrev_i32_e32 v6, 31, v5
	v_add_nc_u32_e32 v10, 2, v10
	v_lshlrev_b64 v[5:6], 3, v[5:6]
	v_add_co_u32 v5, vcc_lo, s12, v5
	v_add_co_ci_u32_e64 v6, null, s13, v6, vcc_lo
	v_cmp_le_i32_e32 vcc_lo, s23, v10
	global_load_dwordx2 v[5:6], v[5:6], off
	s_or_b32 s9, vcc_lo, s9
	s_waitcnt vmcnt(0)
	ds_write_b64 v9, v[5:6]
	v_add_nc_u32_e32 v9, 0x210, v9
	s_andn2_b32 exec_lo, exec_lo, s9
	s_cbranch_execz .LBB18_99
.LBB18_103:                             ;   Parent Loop BB18_100 Depth=1
                                        ; =>  This Inner Loop Header: Depth=2
	s_and_b32 vcc_lo, exec_lo, s5
	s_cbranch_vccz .LBB18_105
; %bb.104:                              ;   in Loop: Header=BB18_103 Depth=2
	v_add_nc_u32_e32 v5, s3, v10
	v_mad_u64_u32 v[5:6], null, v5, s23, v[4:5]
	s_cbranch_execnz .LBB18_102
	s_branch .LBB18_106
	.p2align	6
.LBB18_105:                             ;   in Loop: Header=BB18_103 Depth=2
                                        ; implicit-def: $vgpr5
.LBB18_106:                             ;   in Loop: Header=BB18_103 Depth=2
	v_add_nc_u32_e32 v5, v7, v10
	s_branch .LBB18_102
.LBB18_107:
	s_mov_b32 s7, -1
	s_branch .LBB18_199
.LBB18_108:
	s_inst_prefetch 0x2
	s_or_b32 exec_lo, exec_lo, s2
	s_cmp_lt_i32 s23, 1
	s_waitcnt lgkmcnt(0)
	s_waitcnt_vscnt null, 0x0
	buffer_gl0_inv
	s_cbranch_scc1 .LBB18_136
; %bb.109:
	v_cvt_f64_f32_e32 v[4:5], v12
	v_or_b32_e32 v6, v0, v1
	v_mul_u32_u24_e32 v7, 0x108, v1
	v_lshlrev_b32_e32 v8, 3, v0
	s_cmp_eq_u64 s[16:17], 8
	v_cmp_eq_u32_e64 s1, 0, v1
	s_cselect_b32 vcc_lo, -1, 0
	v_cmp_eq_u32_e64 s2, 0, v6
	v_add3_u32 v8, v7, v8, 0x110
	v_mad_u32_u24 v9, 0x108, v1, 0x108
	s_mov_b32 s4, 0
	v_cndmask_b32_e32 v3, v5, v3, vcc_lo
	v_cndmask_b32_e32 v2, v4, v2, vcc_lo
.LBB18_110:                             ; =>This Loop Header: Depth=1
                                        ;     Child Loop BB18_127 Depth 2
                                        ;       Child Loop BB18_131 Depth 3
	s_mul_i32 s5, s4, 0x108
	s_lshl_b32 s3, s4, 3
	v_cmp_ne_u32_e32 vcc_lo, 1, v11
	s_add_i32 s6, s5, s3
	s_mov_b32 s3, 0
	v_mov_b32_e32 v4, s6
	s_mov_b32 s8, -1
	s_waitcnt lgkmcnt(0)
	ds_read_b64 v[6:7], v4
                                        ; implicit-def: $vgpr4
	s_cbranch_vccz .LBB18_115
; %bb.111:                              ;   in Loop: Header=BB18_110 Depth=1
	s_and_b32 vcc_lo, exec_lo, s8
	s_mov_b32 s8, 0
	s_cbranch_vccnz .LBB18_123
.LBB18_112:                             ;   in Loop: Header=BB18_110 Depth=1
	s_andn2_b32 vcc_lo, exec_lo, s3
                                        ; implicit-def: $sgpr6
	s_cbranch_vccz .LBB18_124
.LBB18_113:                             ;   in Loop: Header=BB18_110 Depth=1
	s_andn2_b32 vcc_lo, exec_lo, s8
	s_cbranch_vccz .LBB18_133
.LBB18_114:                             ;   in Loop: Header=BB18_110 Depth=1
	v_add_nc_u32_e32 v8, 0x110, v8
	v_add_nc_u32_e32 v9, 0x110, v9
	s_cmp_eq_u32 s6, s23
	s_cbranch_scc0 .LBB18_134
	s_branch .LBB18_136
.LBB18_115:                             ;   in Loop: Header=BB18_110 Depth=1
	s_waitcnt lgkmcnt(0)
	v_cmp_gt_f32_e32 vcc_lo, 0, v6
	v_cndmask_b32_e64 v4, v6, -v6, vcc_lo
	v_cmp_gt_f32_e32 vcc_lo, 0, v7
	v_cndmask_b32_e64 v5, v7, -v7, vcc_lo
	v_cmp_ngt_f32_e32 vcc_lo, v4, v5
	s_cbranch_vccz .LBB18_118
; %bb.116:                              ;   in Loop: Header=BB18_110 Depth=1
	v_cmp_eq_f32_e32 vcc_lo, 0, v7
	s_cbranch_vccnz .LBB18_135
; %bb.117:                              ;   in Loop: Header=BB18_110 Depth=1
	v_div_scale_f32 v10, null, v5, v5, v4
	v_div_scale_f32 v14, vcc_lo, v4, v5, v4
	v_rcp_f32_e32 v12, v10
	v_fma_f32 v13, -v10, v12, 1.0
	v_fmac_f32_e32 v12, v13, v12
	v_mul_f32_e32 v13, v14, v12
	v_fma_f32 v15, -v10, v13, v14
	v_fmac_f32_e32 v13, v15, v12
	v_fma_f32 v10, -v10, v13, v14
	v_div_fmas_f32 v10, v10, v12, v13
	v_div_fixup_f32 v10, v10, v5, v4
	v_fma_f32 v10, v10, v10, 1.0
	v_mul_f32_e32 v12, 0x4f800000, v10
	v_cmp_gt_f32_e32 vcc_lo, 0xf800000, v10
	v_cndmask_b32_e32 v10, v10, v12, vcc_lo
	v_sqrt_f32_e32 v12, v10
	v_add_nc_u32_e32 v13, -1, v12
	v_add_nc_u32_e32 v14, 1, v12
	v_fma_f32 v15, -v13, v12, v10
	v_fma_f32 v16, -v14, v12, v10
	v_cmp_ge_f32_e64 s3, 0, v15
	v_cndmask_b32_e64 v12, v12, v13, s3
	v_cmp_lt_f32_e64 s3, 0, v16
	v_cndmask_b32_e64 v12, v12, v14, s3
	v_mul_f32_e32 v13, 0x37800000, v12
	v_cndmask_b32_e32 v12, v12, v13, vcc_lo
	v_cmp_class_f32_e64 vcc_lo, v10, 0x260
	v_cndmask_b32_e32 v10, v12, v10, vcc_lo
	v_mul_f32_e32 v10, v5, v10
	s_cbranch_execz .LBB18_119
	s_branch .LBB18_120
.LBB18_118:                             ;   in Loop: Header=BB18_110 Depth=1
                                        ; implicit-def: $vgpr10
.LBB18_119:                             ;   in Loop: Header=BB18_110 Depth=1
	v_div_scale_f32 v10, null, v4, v4, v5
	v_div_scale_f32 v14, vcc_lo, v5, v4, v5
	v_rcp_f32_e32 v12, v10
	v_fma_f32 v13, -v10, v12, 1.0
	v_fmac_f32_e32 v12, v13, v12
	v_mul_f32_e32 v13, v14, v12
	v_fma_f32 v15, -v10, v13, v14
	v_fmac_f32_e32 v13, v15, v12
	v_fma_f32 v10, -v10, v13, v14
	v_div_fmas_f32 v10, v10, v12, v13
	v_div_fixup_f32 v5, v10, v4, v5
	v_fma_f32 v5, v5, v5, 1.0
	v_mul_f32_e32 v10, 0x4f800000, v5
	v_cmp_gt_f32_e32 vcc_lo, 0xf800000, v5
	v_cndmask_b32_e32 v5, v5, v10, vcc_lo
	v_sqrt_f32_e32 v10, v5
	v_add_nc_u32_e32 v12, -1, v10
	v_add_nc_u32_e32 v13, 1, v10
	v_fma_f32 v14, -v12, v10, v5
	v_fma_f32 v15, -v13, v10, v5
	v_cmp_ge_f32_e64 s3, 0, v14
	v_cndmask_b32_e64 v10, v10, v12, s3
	v_cmp_lt_f32_e64 s3, 0, v15
	v_cndmask_b32_e64 v10, v10, v13, s3
	v_mul_f32_e32 v12, 0x37800000, v10
	v_cndmask_b32_e32 v10, v10, v12, vcc_lo
	v_cmp_class_f32_e64 vcc_lo, v5, 0x260
	v_cndmask_b32_e32 v5, v10, v5, vcc_lo
	v_mul_f32_e32 v10, v4, v5
.LBB18_120:                             ;   in Loop: Header=BB18_110 Depth=1
	v_cvt_f64_f32_e32 v[4:5], v10
	buffer_gl0_inv
	v_cmp_ge_f64_e32 vcc_lo, v[2:3], v[4:5]
	v_cndmask_b32_e64 v5, v7, s38, vcc_lo
	v_cndmask_b32_e64 v4, v6, s33, vcc_lo
	s_and_saveexec_b32 s3, s2
; %bb.121:                              ;   in Loop: Header=BB18_110 Depth=1
	v_mov_b32_e32 v10, s6
	ds_write_b64 v10, v[4:5]
; %bb.122:                              ;   in Loop: Header=BB18_110 Depth=1
	s_or_b32 exec_lo, exec_lo, s3
	s_mov_b32 s3, -1
	s_mov_b32 s8, 0
	s_branch .LBB18_112
.LBB18_123:                             ;   in Loop: Header=BB18_110 Depth=1
	s_waitcnt lgkmcnt(0)
	v_cmp_neq_f32_e32 vcc_lo, 0, v6
	v_cmp_neq_f32_e64 s3, 0, v7
	v_mov_b32_e32 v4, v6
	v_mov_b32_e32 v5, v7
	s_mov_b32 s8, -1
	s_or_b32 s3, vcc_lo, s3
	s_andn2_b32 vcc_lo, exec_lo, s3
                                        ; implicit-def: $sgpr6
	s_cbranch_vccnz .LBB18_113
.LBB18_124:                             ;   in Loop: Header=BB18_110 Depth=1
	s_add_i32 s6, s4, 1
	s_mov_b32 s8, exec_lo
	v_add_nc_u32_e32 v10, s6, v0
	v_cmpx_gt_i32_e64 s23, v10
	s_cbranch_execz .LBB18_132
; %bb.125:                              ;   in Loop: Header=BB18_110 Depth=1
	s_waitcnt lgkmcnt(0)
	v_mul_f32_e32 v6, v5, v5
	s_mov_b32 s9, 0
	v_fmac_f32_e32 v6, v4, v4
	v_div_scale_f32 v7, null, v6, v6, 1.0
	v_div_scale_f32 v14, vcc_lo, 1.0, v6, 1.0
	v_rcp_f32_e32 v13, v7
	v_fma_f32 v12, -v7, v13, 1.0
	v_fmac_f32_e32 v13, v12, v13
	v_mul_f32_e32 v15, v14, v13
	v_fma_f32 v12, -v7, v15, v14
	v_fmac_f32_e32 v15, v12, v13
	v_add_nc_u32_e32 v12, s6, v1
	v_fma_f32 v7, -v7, v15, v14
	v_mov_b32_e32 v14, v8
	v_div_fmas_f32 v7, v7, v13, v15
	v_cmp_gt_i32_e32 vcc_lo, s23, v12
	v_div_fixup_f32 v13, v7, v6, 1.0
	s_branch .LBB18_127
.LBB18_126:                             ;   in Loop: Header=BB18_127 Depth=2
	s_or_b32 exec_lo, exec_lo, s10
	v_add_nc_u32_e32 v10, 32, v10
	v_add_nc_u32_e32 v14, 0x100, v14
	v_cmp_le_i32_e64 s3, s23, v10
	s_or_b32 s9, s3, s9
	s_andn2_b32 exec_lo, exec_lo, s9
	s_cbranch_execz .LBB18_132
.LBB18_127:                             ;   Parent Loop BB18_110 Depth=1
                                        ; =>  This Loop Header: Depth=2
                                        ;       Child Loop BB18_131 Depth 3
	v_lshl_add_u32 v15, v10, 3, s5
	ds_read_b64 v[6:7], v15
	s_waitcnt lgkmcnt(0)
	buffer_gl0_inv
	v_mul_f32_e32 v16, v5, v7
	v_mul_f32_e64 v17, v5, -v6
	v_fmac_f32_e32 v16, v6, v4
	v_fmac_f32_e32 v17, v7, v4
	v_mul_f32_e32 v6, v13, v16
	v_mul_f32_e32 v7, v13, v17
	s_and_saveexec_b32 s3, s1
; %bb.128:                              ;   in Loop: Header=BB18_127 Depth=2
	ds_write_b64 v15, v[6:7]
; %bb.129:                              ;   in Loop: Header=BB18_127 Depth=2
	s_or_b32 exec_lo, exec_lo, s3
	s_and_saveexec_b32 s10, vcc_lo
	s_cbranch_execz .LBB18_126
; %bb.130:                              ;   in Loop: Header=BB18_127 Depth=2
	v_mov_b32_e32 v15, v9
	v_mov_b32_e32 v16, v14
	;; [unrolled: 1-line block ×3, first 2 shown]
	s_mov_b32 s11, 0
	.p2align	6
.LBB18_131:                             ;   Parent Loop BB18_110 Depth=1
                                        ;     Parent Loop BB18_127 Depth=2
                                        ; =>    This Inner Loop Header: Depth=3
	ds_read_b64 v[18:19], v15
	ds_read_b64 v[20:21], v16
	v_add_nc_u32_e32 v17, 2, v17
	v_add_nc_u32_e32 v15, 0x210, v15
	v_cmp_le_i32_e64 s3, s23, v17
	s_or_b32 s11, s3, s11
	s_waitcnt lgkmcnt(0)
	v_fma_f32 v20, -v6, v18, v20
	v_fma_f32 v18, -v7, v18, v21
	v_fmac_f32_e32 v20, v7, v19
	v_fma_f32 v21, -v6, v19, v18
	ds_write_b64 v16, v[20:21]
	v_add_nc_u32_e32 v16, 0x210, v16
	s_andn2_b32 exec_lo, exec_lo, s11
	s_cbranch_execnz .LBB18_131
	s_branch .LBB18_126
.LBB18_132:                             ;   in Loop: Header=BB18_110 Depth=1
	s_or_b32 exec_lo, exec_lo, s8
	s_cbranch_execnz .LBB18_114
.LBB18_133:                             ;   in Loop: Header=BB18_110 Depth=1
	s_add_i32 s6, s4, 1
	s_mov_b32 s7, -1
	v_add_nc_u32_e32 v8, 0x110, v8
	v_add_nc_u32_e32 v9, 0x110, v9
	s_cmp_eq_u32 s6, s23
	s_cbranch_scc1 .LBB18_136
.LBB18_134:                             ;   in Loop: Header=BB18_110 Depth=1
	s_mov_b32 s4, s6
	s_branch .LBB18_110
.LBB18_135:                             ;   in Loop: Header=BB18_110 Depth=1
	v_mov_b32_e32 v10, 0
	s_cbranch_execz .LBB18_119
	s_branch .LBB18_120
.LBB18_136:
	s_waitcnt lgkmcnt(0)
	buffer_gl0_inv
	s_and_saveexec_b32 s2, s0
	s_cbranch_execz .LBB18_146
; %bb.137:
	s_mul_i32 s3, s28, s23
	v_lshlrev_b32_e32 v3, 3, v0
	v_add_nc_u32_e32 v2, s3, v0
	v_cmp_gt_u32_e64 s0, s23, v1
	s_cmp_lg_u32 s30, 0
	s_mov_b32 s4, 0
	v_mad_u32_u24 v6, 0x108, v1, v3
	v_mul_lo_u32 v5, s23, v2
	v_mov_b32_e32 v2, v0
	s_cselect_b32 s5, -1, 0
	s_lshl_b32 s6, s23, 5
	s_inst_prefetch 0x1
	s_branch .LBB18_139
	.p2align	6
.LBB18_138:                             ;   in Loop: Header=BB18_139 Depth=1
	s_or_b32 exec_lo, exec_lo, s8
	v_add_nc_u32_e32 v2, 32, v2
	v_add_nc_u32_e32 v5, s6, v5
	;; [unrolled: 1-line block ×3, first 2 shown]
	v_cmp_le_i32_e32 vcc_lo, s23, v2
	s_or_b32 s4, vcc_lo, s4
	s_andn2_b32 exec_lo, exec_lo, s4
	s_cbranch_execz .LBB18_146
.LBB18_139:                             ; =>This Loop Header: Depth=1
                                        ;     Child Loop BB18_142 Depth 2
	s_and_saveexec_b32 s8, s0
	s_cbranch_execz .LBB18_138
; %bb.140:                              ;   in Loop: Header=BB18_139 Depth=1
	v_mov_b32_e32 v7, v6
	v_mov_b32_e32 v8, v1
	s_mov_b32 s9, 0
	s_branch .LBB18_142
	.p2align	6
.LBB18_141:                             ;   in Loop: Header=BB18_142 Depth=2
	ds_read_b64 v[9:10], v7
	v_ashrrev_i32_e32 v4, 31, v3
	v_add_nc_u32_e32 v8, 2, v8
	v_add_nc_u32_e32 v7, 0x210, v7
	v_lshlrev_b64 v[3:4], 3, v[3:4]
	v_cmp_le_i32_e32 vcc_lo, s23, v8
	s_or_b32 s9, vcc_lo, s9
	v_add_co_u32 v3, s1, s12, v3
	v_add_co_ci_u32_e64 v4, null, s13, v4, s1
	s_waitcnt lgkmcnt(0)
	global_store_dwordx2 v[3:4], v[9:10], off
	s_andn2_b32 exec_lo, exec_lo, s9
	s_cbranch_execz .LBB18_138
.LBB18_142:                             ;   Parent Loop BB18_139 Depth=1
                                        ; =>  This Inner Loop Header: Depth=2
	s_and_b32 vcc_lo, exec_lo, s5
	s_cbranch_vccz .LBB18_144
; %bb.143:                              ;   in Loop: Header=BB18_142 Depth=2
	v_add_nc_u32_e32 v3, s3, v8
	v_mad_u64_u32 v[3:4], null, v3, s23, v[2:3]
	s_cbranch_execnz .LBB18_141
	s_branch .LBB18_145
	.p2align	6
.LBB18_144:                             ;   in Loop: Header=BB18_142 Depth=2
                                        ; implicit-def: $vgpr3
.LBB18_145:                             ;   in Loop: Header=BB18_142 Depth=2
	v_add_nc_u32_e32 v3, v5, v8
	s_branch .LBB18_141
.LBB18_146:
	s_inst_prefetch 0x2
	s_or_b32 exec_lo, exec_lo, s2
.LBB18_147:
	s_add_i32 s4, s28, 1
	s_cmp_ge_i32 s4, s25
	s_cbranch_scc1 .LBB18_199
; %bb.148:
	v_mad_u64_u32 v[2:3], null, s23, s4, v[0:1]
	v_lshlrev_b32_e32 v3, 3, v1
	s_cmp_lg_u32 s30, 0
	v_mul_u32_u24_e32 v4, 0x108, v1
	s_cselect_b32 s5, -1, 0
	s_cmp_gt_i32 s23, 0
	v_lshlrev_b32_e32 v5, 3, v0
	s_cselect_b32 s6, -1, 0
	s_cmp_lg_u32 s23, 1
	v_mad_u32_u24 v11, 0x108, v0, v3
	s_cselect_b32 s8, -1, 0
	s_and_b32 s9, s23, 0x7ffffffe
	s_bitcmp1_b32 s23, 0
	s_movk_i32 s3, 0x2108
	v_cmp_gt_i32_e64 s0, s23, v0
	v_cmp_le_i32_e64 s1, s23, v0
	v_cmp_gt_i32_e64 s2, s23, v1
	v_add_nc_u32_e32 v6, 1, v1
	v_mul_lo_u32 v7, s23, v2
	v_add3_u32 v8, v4, v5, 0x2100
	v_add_nc_u32_e32 v9, 0x2108, v11
	v_add_nc_u32_e32 v2, 8, v3
	v_add_nc_u32_e32 v10, 0x118, v3
	v_add_nc_u32_e32 v11, 0x2110, v11
	v_mad_u32_u24 v12, 0x108, v0, s3
	s_cselect_b32 s10, -1, 0
	s_mul_i32 s11, s23, s23
	s_lshl_b32 s14, s23, 5
	s_branch .LBB18_151
.LBB18_149:                             ;   in Loop: Header=BB18_151 Depth=1
	s_inst_prefetch 0x2
	s_or_b32 exec_lo, exec_lo, s16
.LBB18_150:                             ;   in Loop: Header=BB18_151 Depth=1
	s_or_b32 exec_lo, exec_lo, s15
	v_add_nc_u32_e32 v7, s11, v7
	s_add_i32 s4, s4, 1
	s_cmp_ge_i32 s4, s25
	s_cbranch_scc1 .LBB18_199
.LBB18_151:                             ; =>This Loop Header: Depth=1
                                        ;     Child Loop BB18_154 Depth 2
                                        ;       Child Loop BB18_157 Depth 3
                                        ;     Child Loop BB18_165 Depth 2
                                        ;       Child Loop BB18_168 Depth 3
                                        ;         Child Loop BB18_170 Depth 4
                                        ;       Child Loop BB18_173 Depth 3
                                        ;         Child Loop BB18_175 Depth 4
                                        ;     Child Loop BB18_182 Depth 2
                                        ;       Child Loop BB18_184 Depth 3
                                        ;     Child Loop BB18_192 Depth 2
                                        ;       Child Loop BB18_195 Depth 3
	s_waitcnt lgkmcnt(0)
	s_waitcnt_vscnt null, 0x0
	buffer_gl0_inv
	s_and_saveexec_b32 s3, s0
	s_cbranch_execz .LBB18_161
; %bb.152:                              ;   in Loop: Header=BB18_151 Depth=1
	v_mov_b32_e32 v13, v8
	v_mov_b32_e32 v14, v7
	;; [unrolled: 1-line block ×3, first 2 shown]
	s_mul_i32 s15, s4, s23
	s_mov_b32 s16, 0
	s_inst_prefetch 0x1
	s_branch .LBB18_154
	.p2align	6
.LBB18_153:                             ;   in Loop: Header=BB18_154 Depth=2
	s_or_b32 exec_lo, exec_lo, s17
	v_add_nc_u32_e32 v3, 32, v3
	v_add_nc_u32_e32 v14, s14, v14
	;; [unrolled: 1-line block ×3, first 2 shown]
	v_cmp_le_i32_e32 vcc_lo, s23, v3
	s_or_b32 s16, vcc_lo, s16
	s_andn2_b32 exec_lo, exec_lo, s16
	s_cbranch_execz .LBB18_161
.LBB18_154:                             ;   Parent Loop BB18_151 Depth=1
                                        ; =>  This Loop Header: Depth=2
                                        ;       Child Loop BB18_157 Depth 3
	s_and_saveexec_b32 s17, s2
	s_cbranch_execz .LBB18_153
; %bb.155:                              ;   in Loop: Header=BB18_154 Depth=2
	v_mov_b32_e32 v15, v13
	v_mov_b32_e32 v16, v1
	s_mov_b32 s28, 0
	s_branch .LBB18_157
	.p2align	6
.LBB18_156:                             ;   in Loop: Header=BB18_157 Depth=3
	v_ashrrev_i32_e32 v5, 31, v4
	v_add_nc_u32_e32 v16, 2, v16
	v_lshlrev_b64 v[4:5], 3, v[4:5]
	v_add_co_u32 v4, vcc_lo, s12, v4
	v_add_co_ci_u32_e64 v5, null, s13, v5, vcc_lo
	v_cmp_le_i32_e32 vcc_lo, s23, v16
	global_load_dwordx2 v[4:5], v[4:5], off
	s_or_b32 s28, vcc_lo, s28
	s_waitcnt vmcnt(0)
	ds_write_b64 v15, v[4:5]
	v_add_nc_u32_e32 v15, 0x210, v15
	s_andn2_b32 exec_lo, exec_lo, s28
	s_cbranch_execz .LBB18_153
.LBB18_157:                             ;   Parent Loop BB18_151 Depth=1
                                        ;     Parent Loop BB18_154 Depth=2
                                        ; =>    This Inner Loop Header: Depth=3
	s_and_b32 vcc_lo, exec_lo, s5
	s_cbranch_vccz .LBB18_159
; %bb.158:                              ;   in Loop: Header=BB18_157 Depth=3
	v_add_nc_u32_e32 v4, s15, v16
	v_mad_u64_u32 v[4:5], null, v4, s23, v[3:4]
	s_cbranch_execnz .LBB18_156
	s_branch .LBB18_160
	.p2align	6
.LBB18_159:                             ;   in Loop: Header=BB18_157 Depth=3
                                        ; implicit-def: $vgpr4
.LBB18_160:                             ;   in Loop: Header=BB18_157 Depth=3
	v_add_nc_u32_e32 v4, v14, v16
	s_branch .LBB18_156
.LBB18_161:                             ;   in Loop: Header=BB18_151 Depth=1
	s_inst_prefetch 0x2
	s_or_b32 exec_lo, exec_lo, s3
	s_andn2_b32 vcc_lo, exec_lo, s6
	s_waitcnt lgkmcnt(0)
	buffer_gl0_inv
	s_cbranch_vccnz .LBB18_185
; %bb.162:                              ;   in Loop: Header=BB18_151 Depth=1
	s_andn2_b32 vcc_lo, exec_lo, s8
	s_mov_b32 s3, 0
	s_cbranch_vccnz .LBB18_176
; %bb.163:                              ;   in Loop: Header=BB18_151 Depth=1
	v_mov_b32_e32 v3, v11
	v_mov_b32_e32 v4, v10
	;; [unrolled: 1-line block ×4, first 2 shown]
	s_mov_b32 s15, 0
	s_branch .LBB18_165
.LBB18_164:                             ;   in Loop: Header=BB18_165 Depth=2
	s_inst_prefetch 0x2
	s_or_b32 exec_lo, exec_lo, s16
	v_add_nc_u32_e32 v13, 16, v13
	v_add_nc_u32_e32 v5, 0x220, v5
	;; [unrolled: 1-line block ×4, first 2 shown]
	s_add_i32 s15, s15, 2
	s_mov_b32 s3, s9
	s_cmp_eq_u32 s15, s9
	s_cbranch_scc1 .LBB18_176
.LBB18_165:                             ;   Parent Loop BB18_151 Depth=1
                                        ; =>  This Loop Header: Depth=2
                                        ;       Child Loop BB18_168 Depth 3
                                        ;         Child Loop BB18_170 Depth 4
                                        ;       Child Loop BB18_173 Depth 3
                                        ;         Child Loop BB18_175 Depth 4
	s_and_saveexec_b32 s16, s0
	s_cbranch_execz .LBB18_164
; %bb.166:                              ;   in Loop: Header=BB18_165 Depth=2
	v_add_nc_u32_e32 v14, s15, v6
	v_mov_b32_e32 v15, v13
	v_mov_b32_e32 v16, v0
	s_mov_b32 s28, 0
	s_lshl_b32 s17, s15, 3
	v_cmp_gt_i32_e32 vcc_lo, s23, v14
	s_inst_prefetch 0x1
	s_branch .LBB18_168
	.p2align	6
.LBB18_167:                             ;   in Loop: Header=BB18_168 Depth=3
	s_or_b32 exec_lo, exec_lo, s29
	v_add_nc_u32_e32 v16, 32, v16
	v_add_nc_u32_e32 v15, 0x2100, v15
	v_cmp_le_i32_e64 s3, s23, v16
	s_or_b32 s28, s3, s28
	s_andn2_b32 exec_lo, exec_lo, s28
	s_cbranch_execz .LBB18_171
.LBB18_168:                             ;   Parent Loop BB18_151 Depth=1
                                        ;     Parent Loop BB18_165 Depth=2
                                        ; =>    This Loop Header: Depth=3
                                        ;         Child Loop BB18_170 Depth 4
	s_and_saveexec_b32 s29, vcc_lo
	s_cbranch_execz .LBB18_167
; %bb.169:                              ;   in Loop: Header=BB18_168 Depth=3
	v_mul_lo_u32 v19, 0x108, v16
	v_mov_b32_e32 v17, v5
	v_mov_b32_e32 v18, v15
	;; [unrolled: 1-line block ×3, first 2 shown]
	s_mov_b32 s30, 0
	v_add3_u32 v19, 0x2100, s17, v19
	.p2align	6
.LBB18_170:                             ;   Parent Loop BB18_151 Depth=1
                                        ;     Parent Loop BB18_165 Depth=2
                                        ;       Parent Loop BB18_168 Depth=3
                                        ; =>      This Inner Loop Header: Depth=4
	ds_read_b64 v[21:22], v17
	ds_read_b64 v[23:24], v19
	;; [unrolled: 1-line block ×3, first 2 shown]
	v_add_nc_u32_e32 v20, 2, v20
	v_add_nc_u32_e32 v17, 16, v17
	v_cmp_le_i32_e64 s3, s23, v20
	s_or_b32 s30, s3, s30
	s_waitcnt lgkmcnt(0)
	v_fma_f32 v25, -v21, v23, v25
	v_fma_f32 v23, -v22, v23, v26
	v_fmac_f32_e32 v25, v22, v24
	v_fma_f32 v26, -v21, v24, v23
	ds_write_b64 v18, v[25:26]
	v_add_nc_u32_e32 v18, 16, v18
	s_andn2_b32 exec_lo, exec_lo, s30
	s_cbranch_execnz .LBB18_170
	s_branch .LBB18_167
.LBB18_171:                             ;   in Loop: Header=BB18_165 Depth=2
	s_inst_prefetch 0x2
	s_or_b32 exec_lo, exec_lo, s28
	v_add3_u32 v14, v6, s15, 1
	v_mov_b32_e32 v15, v3
	v_mov_b32_e32 v16, v0
	s_mov_b32 s28, 0
	v_cmp_gt_i32_e32 vcc_lo, s23, v14
	s_inst_prefetch 0x1
	s_branch .LBB18_173
	.p2align	6
.LBB18_172:                             ;   in Loop: Header=BB18_173 Depth=3
	s_or_b32 exec_lo, exec_lo, s29
	v_add_nc_u32_e32 v16, 32, v16
	v_add_nc_u32_e32 v15, 0x2100, v15
	v_cmp_le_i32_e64 s3, s23, v16
	s_or_b32 s28, s3, s28
	s_andn2_b32 exec_lo, exec_lo, s28
	s_cbranch_execz .LBB18_164
.LBB18_173:                             ;   Parent Loop BB18_151 Depth=1
                                        ;     Parent Loop BB18_165 Depth=2
                                        ; =>    This Loop Header: Depth=3
                                        ;         Child Loop BB18_175 Depth 4
	s_and_saveexec_b32 s29, vcc_lo
	s_cbranch_execz .LBB18_172
; %bb.174:                              ;   in Loop: Header=BB18_173 Depth=3
	v_mul_lo_u32 v19, 0x108, v16
	v_mov_b32_e32 v17, v15
	v_mov_b32_e32 v18, v4
	;; [unrolled: 1-line block ×3, first 2 shown]
	s_mov_b32 s30, 0
	v_add3_u32 v19, 0x2100, s17, v19
	.p2align	6
.LBB18_175:                             ;   Parent Loop BB18_151 Depth=1
                                        ;     Parent Loop BB18_165 Depth=2
                                        ;       Parent Loop BB18_173 Depth=3
                                        ; =>      This Inner Loop Header: Depth=4
	ds_read_b64 v[21:22], v18
	ds_read_b64 v[23:24], v19 offset:8
	ds_read_b64 v[25:26], v17
	v_add_nc_u32_e32 v20, 2, v20
	v_add_nc_u32_e32 v18, 16, v18
	v_cmp_le_i32_e64 s3, s23, v20
	s_or_b32 s30, s3, s30
	s_waitcnt lgkmcnt(0)
	v_fma_f32 v25, -v21, v23, v25
	v_fma_f32 v23, -v22, v23, v26
	v_fmac_f32_e32 v25, v22, v24
	v_fma_f32 v26, -v21, v24, v23
	ds_write_b64 v17, v[25:26]
	v_add_nc_u32_e32 v17, 16, v17
	s_andn2_b32 exec_lo, exec_lo, s30
	s_cbranch_execnz .LBB18_175
	s_branch .LBB18_172
.LBB18_176:                             ;   in Loop: Header=BB18_151 Depth=1
	s_andn2_b32 vcc_lo, exec_lo, s10
	s_mov_b32 s16, -1
	s_cbranch_vccnz .LBB18_186
; %bb.177:                              ;   in Loop: Header=BB18_151 Depth=1
	s_and_saveexec_b32 s15, s1
	s_xor_b32 s15, exec_lo, s15
	s_cbranch_execz .LBB18_179
; %bb.178:                              ;   in Loop: Header=BB18_151 Depth=1
	s_waitcnt lgkmcnt(0)
	buffer_gl0_inv
.LBB18_179:                             ;   in Loop: Header=BB18_151 Depth=1
	s_or_saveexec_b32 s15, s15
	s_mov_b32 s16, 0
	s_xor_b32 exec_lo, exec_lo, s15
	s_cbranch_execz .LBB18_188
; %bb.180:                              ;   in Loop: Header=BB18_151 Depth=1
	v_add_nc_u32_e32 v13, s3, v1
	v_mad_u64_u32 v[3:4], null, 0x110, s3, v[2:3]
	v_add_nc_u32_e32 v5, s3, v6
	s_lshl_b32 s17, s3, 3
	v_lshl_add_u32 v4, v13, 3, v12
	v_mov_b32_e32 v13, v0
	v_cmp_gt_i32_e32 vcc_lo, s23, v5
	s_inst_prefetch 0x1
	s_branch .LBB18_182
	.p2align	6
.LBB18_181:                             ;   in Loop: Header=BB18_182 Depth=2
	s_or_b32 exec_lo, exec_lo, s28
	v_add_nc_u32_e32 v13, 32, v13
	v_add_nc_u32_e32 v4, 0x2100, v4
	v_cmp_le_i32_e64 s3, s23, v13
	s_or_b32 s16, s3, s16
	s_andn2_b32 exec_lo, exec_lo, s16
	s_cbranch_execz .LBB18_187
.LBB18_182:                             ;   Parent Loop BB18_151 Depth=1
                                        ; =>  This Loop Header: Depth=2
                                        ;       Child Loop BB18_184 Depth 3
	s_and_saveexec_b32 s28, vcc_lo
	s_cbranch_execz .LBB18_181
; %bb.183:                              ;   in Loop: Header=BB18_182 Depth=2
	v_mul_lo_u32 v16, 0x108, v13
	v_mov_b32_e32 v14, v3
	v_mov_b32_e32 v15, v4
	;; [unrolled: 1-line block ×3, first 2 shown]
	s_mov_b32 s29, 0
	v_add3_u32 v16, 0x2100, s17, v16
	.p2align	6
.LBB18_184:                             ;   Parent Loop BB18_151 Depth=1
                                        ;     Parent Loop BB18_182 Depth=2
                                        ; =>    This Inner Loop Header: Depth=3
	ds_read_b64 v[18:19], v14
	ds_read_b64 v[20:21], v16
	;; [unrolled: 1-line block ×3, first 2 shown]
	v_add_nc_u32_e32 v17, 2, v17
	v_add_nc_u32_e32 v14, 16, v14
	v_cmp_le_i32_e64 s3, s23, v17
	s_or_b32 s29, s3, s29
	s_waitcnt lgkmcnt(0)
	v_fma_f32 v22, -v18, v20, v22
	v_fma_f32 v20, -v19, v20, v23
	v_fmac_f32_e32 v22, v19, v21
	v_fma_f32 v23, -v18, v21, v20
	ds_write_b64 v15, v[22:23]
	v_add_nc_u32_e32 v15, 16, v15
	s_andn2_b32 exec_lo, exec_lo, s29
	s_cbranch_execnz .LBB18_184
	s_branch .LBB18_181
.LBB18_185:                             ;   in Loop: Header=BB18_151 Depth=1
	s_mov_b32 s16, -1
.LBB18_186:                             ;   in Loop: Header=BB18_151 Depth=1
	s_and_saveexec_b32 s3, s16
	s_xor_b32 s15, exec_lo, s3
	s_cbranch_execz .LBB18_150
	s_branch .LBB18_189
.LBB18_187:                             ;   in Loop: Header=BB18_151 Depth=1
	s_inst_prefetch 0x2
	s_or_b32 exec_lo, exec_lo, s16
	s_mov_b32 s16, exec_lo
.LBB18_188:                             ;   in Loop: Header=BB18_151 Depth=1
	s_or_b32 exec_lo, exec_lo, s15
	s_and_saveexec_b32 s3, s16
	s_xor_b32 s15, exec_lo, s3
	s_cbranch_execz .LBB18_150
.LBB18_189:                             ;   in Loop: Header=BB18_151 Depth=1
	s_waitcnt lgkmcnt(0)
	buffer_gl0_inv
	s_and_saveexec_b32 s16, s0
	s_cbranch_execz .LBB18_149
; %bb.190:                              ;   in Loop: Header=BB18_151 Depth=1
	v_mov_b32_e32 v13, v8
	v_mov_b32_e32 v14, v7
	;; [unrolled: 1-line block ×3, first 2 shown]
	s_mul_i32 s17, s4, s23
	s_mov_b32 s28, 0
	s_inst_prefetch 0x1
	s_branch .LBB18_192
	.p2align	6
.LBB18_191:                             ;   in Loop: Header=BB18_192 Depth=2
	s_or_b32 exec_lo, exec_lo, s29
	v_add_nc_u32_e32 v3, 32, v3
	v_add_nc_u32_e32 v14, s14, v14
	;; [unrolled: 1-line block ×3, first 2 shown]
	v_cmp_le_i32_e32 vcc_lo, s23, v3
	s_or_b32 s28, vcc_lo, s28
	s_andn2_b32 exec_lo, exec_lo, s28
	s_cbranch_execz .LBB18_149
.LBB18_192:                             ;   Parent Loop BB18_151 Depth=1
                                        ; =>  This Loop Header: Depth=2
                                        ;       Child Loop BB18_195 Depth 3
	s_and_saveexec_b32 s29, s2
	s_cbranch_execz .LBB18_191
; %bb.193:                              ;   in Loop: Header=BB18_192 Depth=2
	v_mov_b32_e32 v15, v13
	v_mov_b32_e32 v16, v1
	s_mov_b32 s30, 0
	s_branch .LBB18_195
	.p2align	6
.LBB18_194:                             ;   in Loop: Header=BB18_195 Depth=3
	ds_read_b64 v[17:18], v15
	v_ashrrev_i32_e32 v5, 31, v4
	v_add_nc_u32_e32 v16, 2, v16
	v_add_nc_u32_e32 v15, 0x210, v15
	v_lshlrev_b64 v[4:5], 3, v[4:5]
	v_cmp_le_i32_e32 vcc_lo, s23, v16
	s_or_b32 s30, vcc_lo, s30
	v_add_co_u32 v4, s3, s12, v4
	v_add_co_ci_u32_e64 v5, null, s13, v5, s3
	s_waitcnt lgkmcnt(0)
	global_store_dwordx2 v[4:5], v[17:18], off
	s_andn2_b32 exec_lo, exec_lo, s30
	s_cbranch_execz .LBB18_191
.LBB18_195:                             ;   Parent Loop BB18_151 Depth=1
                                        ;     Parent Loop BB18_192 Depth=2
                                        ; =>    This Inner Loop Header: Depth=3
	s_and_b32 vcc_lo, exec_lo, s5
	s_cbranch_vccz .LBB18_197
; %bb.196:                              ;   in Loop: Header=BB18_195 Depth=3
	v_add_nc_u32_e32 v4, s17, v16
	v_mad_u64_u32 v[4:5], null, v4, s23, v[3:4]
	s_cbranch_execnz .LBB18_194
	s_branch .LBB18_198
	.p2align	6
.LBB18_197:                             ;   in Loop: Header=BB18_195 Depth=3
                                        ; implicit-def: $vgpr4
.LBB18_198:                             ;   in Loop: Header=BB18_195 Depth=3
	v_add_nc_u32_e32 v4, v14, v16
	s_branch .LBB18_194
.LBB18_199:
	v_or_b32_e32 v0, v0, v1
	s_mov_b32 s0, exec_lo
	v_cmpx_eq_u32_e32 0, v0
	s_cbranch_execz .LBB18_203
; %bb.200:
	v_mov_b32_e32 v0, 0
	v_mov_b32_e32 v1, 1
	s_add_u32 s0, s20, s26
	s_addc_u32 s1, s21, s27
	s_andn2_b32 vcc_lo, exec_lo, s7
	s_waitcnt vmcnt(0) lgkmcnt(0)
	s_waitcnt_vscnt null, 0x0
	global_store_dword v0, v1, s[0:1]
	s_cbranch_vccnz .LBB18_203
; %bb.201:
	v_mbcnt_lo_u32_b32 v0, exec_lo, 0
	v_cmp_eq_u32_e32 vcc_lo, 0, v0
	s_and_b32 exec_lo, exec_lo, vcc_lo
	s_cbranch_execz .LBB18_203
; %bb.202:
	s_add_i32 s0, s22, s24
	v_mov_b32_e32 v0, 0
	v_mov_b32_e32 v1, s0
	global_atomic_smin v0, v1, s[18:19]
.LBB18_203:
	s_endpgm
	.section	.rodata,"a",@progbits
	.p2align	6, 0x0
	.amdhsa_kernel _ZN9rocsparseL12bsrilu0_9_32ILj64ELj64ELj32E21rocsparse_complex_numIfEEEv20rocsparse_direction_iPKiS5_PT2_S5_iPiS5_S8_21rocsparse_index_base_imNS_24const_host_device_scalarIfEENSA_IdEENSA_IS6_EEb
		.amdhsa_group_segment_fixed_size 16896
		.amdhsa_private_segment_fixed_size 0
		.amdhsa_kernarg_size 116
		.amdhsa_user_sgpr_count 6
		.amdhsa_user_sgpr_private_segment_buffer 1
		.amdhsa_user_sgpr_dispatch_ptr 0
		.amdhsa_user_sgpr_queue_ptr 0
		.amdhsa_user_sgpr_kernarg_segment_ptr 1
		.amdhsa_user_sgpr_dispatch_id 0
		.amdhsa_user_sgpr_flat_scratch_init 0
		.amdhsa_user_sgpr_private_segment_size 0
		.amdhsa_wavefront_size32 1
		.amdhsa_uses_dynamic_stack 0
		.amdhsa_system_sgpr_private_segment_wavefront_offset 0
		.amdhsa_system_sgpr_workgroup_id_x 1
		.amdhsa_system_sgpr_workgroup_id_y 0
		.amdhsa_system_sgpr_workgroup_id_z 0
		.amdhsa_system_sgpr_workgroup_info 0
		.amdhsa_system_vgpr_workitem_id 1
		.amdhsa_next_free_vgpr 193
		.amdhsa_next_free_sgpr 47
		.amdhsa_reserve_vcc 1
		.amdhsa_reserve_flat_scratch 0
		.amdhsa_float_round_mode_32 0
		.amdhsa_float_round_mode_16_64 0
		.amdhsa_float_denorm_mode_32 3
		.amdhsa_float_denorm_mode_16_64 3
		.amdhsa_dx10_clamp 1
		.amdhsa_ieee_mode 1
		.amdhsa_fp16_overflow 0
		.amdhsa_workgroup_processor_mode 1
		.amdhsa_memory_ordered 1
		.amdhsa_forward_progress 1
		.amdhsa_shared_vgpr_count 0
		.amdhsa_exception_fp_ieee_invalid_op 0
		.amdhsa_exception_fp_denorm_src 0
		.amdhsa_exception_fp_ieee_div_zero 0
		.amdhsa_exception_fp_ieee_overflow 0
		.amdhsa_exception_fp_ieee_underflow 0
		.amdhsa_exception_fp_ieee_inexact 0
		.amdhsa_exception_int_div_zero 0
	.end_amdhsa_kernel
	.section	.text._ZN9rocsparseL12bsrilu0_9_32ILj64ELj64ELj32E21rocsparse_complex_numIfEEEv20rocsparse_direction_iPKiS5_PT2_S5_iPiS5_S8_21rocsparse_index_base_imNS_24const_host_device_scalarIfEENSA_IdEENSA_IS6_EEb,"axG",@progbits,_ZN9rocsparseL12bsrilu0_9_32ILj64ELj64ELj32E21rocsparse_complex_numIfEEEv20rocsparse_direction_iPKiS5_PT2_S5_iPiS5_S8_21rocsparse_index_base_imNS_24const_host_device_scalarIfEENSA_IdEENSA_IS6_EEb,comdat
.Lfunc_end18:
	.size	_ZN9rocsparseL12bsrilu0_9_32ILj64ELj64ELj32E21rocsparse_complex_numIfEEEv20rocsparse_direction_iPKiS5_PT2_S5_iPiS5_S8_21rocsparse_index_base_imNS_24const_host_device_scalarIfEENSA_IdEENSA_IS6_EEb, .Lfunc_end18-_ZN9rocsparseL12bsrilu0_9_32ILj64ELj64ELj32E21rocsparse_complex_numIfEEEv20rocsparse_direction_iPKiS5_PT2_S5_iPiS5_S8_21rocsparse_index_base_imNS_24const_host_device_scalarIfEENSA_IdEENSA_IS6_EEb
                                        ; -- End function
	.set _ZN9rocsparseL12bsrilu0_9_32ILj64ELj64ELj32E21rocsparse_complex_numIfEEEv20rocsparse_direction_iPKiS5_PT2_S5_iPiS5_S8_21rocsparse_index_base_imNS_24const_host_device_scalarIfEENSA_IdEENSA_IS6_EEb.num_vgpr, 35
	.set _ZN9rocsparseL12bsrilu0_9_32ILj64ELj64ELj32E21rocsparse_complex_numIfEEEv20rocsparse_direction_iPKiS5_PT2_S5_iPiS5_S8_21rocsparse_index_base_imNS_24const_host_device_scalarIfEENSA_IdEENSA_IS6_EEb.num_agpr, 0
	.set _ZN9rocsparseL12bsrilu0_9_32ILj64ELj64ELj32E21rocsparse_complex_numIfEEEv20rocsparse_direction_iPKiS5_PT2_S5_iPiS5_S8_21rocsparse_index_base_imNS_24const_host_device_scalarIfEENSA_IdEENSA_IS6_EEb.numbered_sgpr, 47
	.set _ZN9rocsparseL12bsrilu0_9_32ILj64ELj64ELj32E21rocsparse_complex_numIfEEEv20rocsparse_direction_iPKiS5_PT2_S5_iPiS5_S8_21rocsparse_index_base_imNS_24const_host_device_scalarIfEENSA_IdEENSA_IS6_EEb.num_named_barrier, 0
	.set _ZN9rocsparseL12bsrilu0_9_32ILj64ELj64ELj32E21rocsparse_complex_numIfEEEv20rocsparse_direction_iPKiS5_PT2_S5_iPiS5_S8_21rocsparse_index_base_imNS_24const_host_device_scalarIfEENSA_IdEENSA_IS6_EEb.private_seg_size, 0
	.set _ZN9rocsparseL12bsrilu0_9_32ILj64ELj64ELj32E21rocsparse_complex_numIfEEEv20rocsparse_direction_iPKiS5_PT2_S5_iPiS5_S8_21rocsparse_index_base_imNS_24const_host_device_scalarIfEENSA_IdEENSA_IS6_EEb.uses_vcc, 1
	.set _ZN9rocsparseL12bsrilu0_9_32ILj64ELj64ELj32E21rocsparse_complex_numIfEEEv20rocsparse_direction_iPKiS5_PT2_S5_iPiS5_S8_21rocsparse_index_base_imNS_24const_host_device_scalarIfEENSA_IdEENSA_IS6_EEb.uses_flat_scratch, 0
	.set _ZN9rocsparseL12bsrilu0_9_32ILj64ELj64ELj32E21rocsparse_complex_numIfEEEv20rocsparse_direction_iPKiS5_PT2_S5_iPiS5_S8_21rocsparse_index_base_imNS_24const_host_device_scalarIfEENSA_IdEENSA_IS6_EEb.has_dyn_sized_stack, 0
	.set _ZN9rocsparseL12bsrilu0_9_32ILj64ELj64ELj32E21rocsparse_complex_numIfEEEv20rocsparse_direction_iPKiS5_PT2_S5_iPiS5_S8_21rocsparse_index_base_imNS_24const_host_device_scalarIfEENSA_IdEENSA_IS6_EEb.has_recursion, 0
	.set _ZN9rocsparseL12bsrilu0_9_32ILj64ELj64ELj32E21rocsparse_complex_numIfEEEv20rocsparse_direction_iPKiS5_PT2_S5_iPiS5_S8_21rocsparse_index_base_imNS_24const_host_device_scalarIfEENSA_IdEENSA_IS6_EEb.has_indirect_call, 0
	.section	.AMDGPU.csdata,"",@progbits
; Kernel info:
; codeLenInByte = 7020
; TotalNumSgprs: 49
; NumVgprs: 35
; ScratchSize: 0
; MemoryBound: 0
; FloatMode: 240
; IeeeMode: 1
; LDSByteSize: 16896 bytes/workgroup (compile time only)
; SGPRBlocks: 0
; VGPRBlocks: 24
; NumSGPRsForWavesPerEU: 49
; NumVGPRsForWavesPerEU: 193
; Occupancy: 4
; WaveLimiterHint : 1
; COMPUTE_PGM_RSRC2:SCRATCH_EN: 0
; COMPUTE_PGM_RSRC2:USER_SGPR: 6
; COMPUTE_PGM_RSRC2:TRAP_HANDLER: 0
; COMPUTE_PGM_RSRC2:TGID_X_EN: 1
; COMPUTE_PGM_RSRC2:TGID_Y_EN: 0
; COMPUTE_PGM_RSRC2:TGID_Z_EN: 0
; COMPUTE_PGM_RSRC2:TIDIG_COMP_CNT: 1
	.section	.text._ZN9rocsparseL13bsrilu0_33_64ILj64ELj64ELj64E21rocsparse_complex_numIfEEEv20rocsparse_direction_iPKiS5_PT2_S5_iPiS5_S8_21rocsparse_index_base_imNS_24const_host_device_scalarIfEENSA_IdEENSA_IS6_EEb,"axG",@progbits,_ZN9rocsparseL13bsrilu0_33_64ILj64ELj64ELj64E21rocsparse_complex_numIfEEEv20rocsparse_direction_iPKiS5_PT2_S5_iPiS5_S8_21rocsparse_index_base_imNS_24const_host_device_scalarIfEENSA_IdEENSA_IS6_EEb,comdat
	.globl	_ZN9rocsparseL13bsrilu0_33_64ILj64ELj64ELj64E21rocsparse_complex_numIfEEEv20rocsparse_direction_iPKiS5_PT2_S5_iPiS5_S8_21rocsparse_index_base_imNS_24const_host_device_scalarIfEENSA_IdEENSA_IS6_EEb ; -- Begin function _ZN9rocsparseL13bsrilu0_33_64ILj64ELj64ELj64E21rocsparse_complex_numIfEEEv20rocsparse_direction_iPKiS5_PT2_S5_iPiS5_S8_21rocsparse_index_base_imNS_24const_host_device_scalarIfEENSA_IdEENSA_IS6_EEb
	.p2align	8
	.type	_ZN9rocsparseL13bsrilu0_33_64ILj64ELj64ELj64E21rocsparse_complex_numIfEEEv20rocsparse_direction_iPKiS5_PT2_S5_iPiS5_S8_21rocsparse_index_base_imNS_24const_host_device_scalarIfEENSA_IdEENSA_IS6_EEb,@function
_ZN9rocsparseL13bsrilu0_33_64ILj64ELj64ELj64E21rocsparse_complex_numIfEEEv20rocsparse_direction_iPKiS5_PT2_S5_iPiS5_S8_21rocsparse_index_base_imNS_24const_host_device_scalarIfEENSA_IdEENSA_IS6_EEb: ; @_ZN9rocsparseL13bsrilu0_33_64ILj64ELj64ELj64E21rocsparse_complex_numIfEEEv20rocsparse_direction_iPKiS5_PT2_S5_iPiS5_S8_21rocsparse_index_base_imNS_24const_host_device_scalarIfEENSA_IdEENSA_IS6_EEb
; %bb.0:
	s_clause 0x2
	s_load_dword s0, s[4:5], 0x70
	s_load_dwordx2 s[24:25], s[4:5], 0x48
	s_load_dwordx8 s[16:23], s[4:5], 0x50
	s_waitcnt lgkmcnt(0)
	s_bitcmp1_b32 s0, 0
	s_cselect_b32 s2, -1, 0
	s_cmp_eq_u32 s25, 0
	s_cselect_b32 s8, -1, 0
	s_cmp_lg_u32 s25, 0
	s_cselect_b32 s3, -1, 0
	s_or_b32 s9, s8, s2
	s_xor_b32 s7, s9, -1
	s_and_b32 s0, s8, exec_lo
	s_cselect_b32 s1, 0, s21
	s_cselect_b32 s0, 0, s20
	s_and_b32 vcc_lo, exec_lo, s9
	s_cbranch_vccnz .LBB19_2
; %bb.1:
	s_load_dword s0, s[18:19], 0x0
	s_waitcnt lgkmcnt(0)
	v_mov_b32_e32 v19, s0
	s_mov_b64 s[0:1], s[20:21]
	v_mov_b32_e32 v3, s1
	v_mov_b32_e32 v2, s0
	s_andn2_b32 vcc_lo, exec_lo, s7
	s_cbranch_vccz .LBB19_3
	s_branch .LBB19_4
.LBB19_2:
	v_cndmask_b32_e64 v19, s18, 0, s8
	v_mov_b32_e32 v3, s1
	v_mov_b32_e32 v2, s0
	s_andn2_b32 vcc_lo, exec_lo, s7
	s_cbranch_vccnz .LBB19_4
.LBB19_3:
	v_mov_b32_e32 v2, s20
	v_mov_b32_e32 v3, s21
	flat_load_dwordx2 v[2:3], v[2:3]
.LBB19_4:
	v_cndmask_b32_e64 v18, 0, 1, s3
	s_mov_b32 s25, 0
	s_andn2_b32 vcc_lo, exec_lo, s3
	s_mov_b32 s29, s25
	s_cbranch_vccnz .LBB19_10
; %bb.5:
	s_xor_b32 s0, s2, -1
	s_mov_b32 s25, s22
	v_cndmask_b32_e64 v4, 0, 1, s0
	s_andn2_b32 vcc_lo, exec_lo, s0
	s_cbranch_vccnz .LBB19_7
; %bb.6:
	s_load_dword s25, s[22:23], 0x0
.LBB19_7:
	v_cmp_ne_u32_e32 vcc_lo, 1, v4
	s_cbranch_vccnz .LBB19_9
; %bb.8:
	s_load_dword s23, s[22:23], 0x4
.LBB19_9:
	s_waitcnt lgkmcnt(0)
	s_mov_b32 s29, s23
.LBB19_10:
	s_clause 0x1
	s_load_dwordx4 s[20:23], s[4:5], 0x30
	s_load_dwordx2 s[18:19], s[4:5], 0x40
	s_mov_b32 s7, 0
	s_lshl_b64 s[0:1], s[6:7], 2
	s_waitcnt lgkmcnt(0)
	s_add_u32 s0, s22, s0
	s_addc_u32 s1, s23, s1
	s_load_dword s22, s[0:1], 0x0
	s_load_dwordx8 s[8:15], s[4:5], 0x8
	s_waitcnt lgkmcnt(0)
	s_ashr_i32 s23, s22, 31
	s_lshl_b64 s[26:27], s[22:23], 2
	s_add_u32 s0, s14, s26
	s_addc_u32 s1, s15, s27
	s_load_dword s30, s[0:1], 0x0
	s_waitcnt lgkmcnt(0)
	s_cmp_eq_u32 s30, -1
	s_cbranch_scc1 .LBB19_104
; %bb.11:
	s_add_u32 s0, s8, s26
	s_addc_u32 s1, s9, s27
	s_load_dwordx2 s[0:1], s[0:1], 0x0
	s_clause 0x1
	s_load_dwordx2 s[34:35], s[4:5], 0x0
	s_load_dword s28, s[4:5], 0x28
	s_waitcnt lgkmcnt(0)
	s_sub_i32 s36, s0, s24
	s_sub_i32 s23, s1, s24
	s_cmp_ge_i32 s36, s30
	s_cbranch_scc1 .LBB19_93
; %bb.12:
	v_lshl_or_b32 v4, v1, 6, v0
	v_mad_u64_u32 v[6:7], null, s28, s36, v[0:1]
	v_add_nc_u32_e32 v20, 1, v1
	v_lshlrev_b32_e32 v9, 3, v0
	v_add_nc_u32_e32 v4, s36, v4
	s_cmp_lg_u32 s34, 0
	v_cmp_gt_i32_e64 s0, s28, v0
	v_cmp_le_i32_e64 s1, s28, v0
	v_mul_lo_u32 v21, s28, v6
	v_ashrrev_i32_e32 v5, 31, v4
	v_cmp_gt_i32_e64 s2, s28, v1
	v_cmp_eq_u32_e64 s3, 0, v1
	v_cmp_gt_i32_e64 s4, s23, v4
	v_mul_u32_u24_e32 v22, 0x208, v1
	v_lshlrev_b64 v[7:8], 2, v[4:5]
	v_mad_u32_u24 v23, 0x208, v1, v9
	v_add_nc_u32_e32 v24, v20, v21
	v_mad_u32_u24 v25, 0x208, v1, 0x208
	v_mov_b32_e32 v26, 0
	s_cselect_b32 s33, -1, 0
	v_add_co_u32 v5, vcc_lo, s10, v7
	v_add_co_ci_u32_e64 v6, null, s11, v8, vcc_lo
	s_cmp_gt_i32 s28, 0
	s_mov_b32 s31, 0
	s_cselect_b32 s40, -1, 0
	s_add_i32 s35, s35, 1
	s_lshl_b32 s41, s28, 6
	s_mul_i32 s42, s28, s28
.LBB19_13:                              ; =>This Loop Header: Depth=1
                                        ;     Child Loop BB19_15 Depth 2
                                        ;     Child Loop BB19_19 Depth 2
                                        ;       Child Loop BB19_22 Depth 3
                                        ;     Child Loop BB19_29 Depth 2
                                        ;       Child Loop BB19_32 Depth 3
                                        ;         Child Loop BB19_43 Depth 4
                                        ;     Child Loop BB19_54 Depth 2
                                        ;       Child Loop BB19_59 Depth 3
                                        ;       Child Loop BB19_68 Depth 3
                                        ;         Child Loop BB19_71 Depth 4
                                        ;       Child Loop BB19_77 Depth 3
                                        ;         Child Loop BB19_80 Depth 4
                                        ;           Child Loop BB19_82 Depth 5
	s_ashr_i32 s37, s36, 31
	s_lshl_b64 s[6:7], s[36:37], 2
	s_add_u32 s6, s10, s6
	s_addc_u32 s7, s11, s7
	global_load_dword v7, v26, s[6:7]
	s_waitcnt vmcnt(0)
	v_readfirstlane_b32 s5, v7
	s_sub_i32 s6, s5, s24
	s_ashr_i32 s7, s6, 31
	s_lshl_b64 s[38:39], s[6:7], 2
	s_add_u32 s6, s14, s38
	s_addc_u32 s7, s15, s39
	global_load_dword v7, v26, s[6:7]
	s_mov_b32 s7, -1
	s_waitcnt vmcnt(0)
	v_cmp_eq_u32_e32 vcc_lo, -1, v7
	v_readfirstlane_b32 s43, v7
	v_cmp_ne_u32_e64 s5, -1, v7
	s_cbranch_vccnz .LBB19_91
; %bb.14:                               ;   in Loop: Header=BB19_13 Depth=1
	s_add_u32 s6, s8, s38
	s_addc_u32 s7, s9, s39
	global_load_dword v7, v26, s[6:7] offset:4
	s_add_u32 s6, s20, s38
	s_addc_u32 s7, s21, s39
	s_waitcnt vmcnt(0)
	v_readfirstlane_b32 s44, v7
.LBB19_15:                              ;   Parent Loop BB19_13 Depth=1
                                        ; =>  This Inner Loop Header: Depth=2
	global_load_dword v7, v26, s[6:7] glc dlc
	s_waitcnt vmcnt(0)
	v_cmp_eq_u32_e32 vcc_lo, 0, v7
	s_cbranch_vccnz .LBB19_15
; %bb.16:                               ;   in Loop: Header=BB19_13 Depth=1
	buffer_gl1_inv
	buffer_gl0_inv
	s_and_saveexec_b32 s6, s0
	s_cbranch_execz .LBB19_26
; %bb.17:                               ;   in Loop: Header=BB19_13 Depth=1
	s_mul_i32 s7, s43, s28
	s_waitcnt lgkmcnt(0)
	v_mov_b32_e32 v11, v23
	v_add_nc_u32_e32 v7, s7, v0
	s_mov_b32 s37, 0
	v_mul_lo_u32 v10, s28, v7
	v_mov_b32_e32 v7, v0
	s_inst_prefetch 0x1
	s_branch .LBB19_19
	.p2align	6
.LBB19_18:                              ;   in Loop: Header=BB19_19 Depth=2
	s_or_b32 exec_lo, exec_lo, s38
	v_add_nc_u32_e32 v7, 64, v7
	v_add_nc_u32_e32 v10, s41, v10
	;; [unrolled: 1-line block ×3, first 2 shown]
	v_cmp_le_i32_e32 vcc_lo, s28, v7
	s_or_b32 s37, vcc_lo, s37
	s_andn2_b32 exec_lo, exec_lo, s37
	s_cbranch_execz .LBB19_26
.LBB19_19:                              ;   Parent Loop BB19_13 Depth=1
                                        ; =>  This Loop Header: Depth=2
                                        ;       Child Loop BB19_22 Depth 3
	s_and_saveexec_b32 s38, s2
	s_cbranch_execz .LBB19_18
; %bb.20:                               ;   in Loop: Header=BB19_19 Depth=2
	v_mov_b32_e32 v12, v11
	v_mov_b32_e32 v13, v1
	s_mov_b32 s39, 0
	s_branch .LBB19_22
	.p2align	6
.LBB19_21:                              ;   in Loop: Header=BB19_22 Depth=3
	v_ashrrev_i32_e32 v9, 31, v8
	v_add_nc_u32_e32 v13, 1, v13
	v_lshlrev_b64 v[8:9], 3, v[8:9]
	v_add_co_u32 v8, vcc_lo, s12, v8
	v_add_co_ci_u32_e64 v9, null, s13, v9, vcc_lo
	v_cmp_le_i32_e32 vcc_lo, s28, v13
	global_load_dwordx2 v[8:9], v[8:9], off
	s_or_b32 s39, vcc_lo, s39
	s_waitcnt vmcnt(0)
	ds_write_b64 v12, v[8:9]
	v_add_nc_u32_e32 v12, 0x208, v12
	s_andn2_b32 exec_lo, exec_lo, s39
	s_cbranch_execz .LBB19_18
.LBB19_22:                              ;   Parent Loop BB19_13 Depth=1
                                        ;     Parent Loop BB19_19 Depth=2
                                        ; =>    This Inner Loop Header: Depth=3
	s_and_b32 vcc_lo, exec_lo, s33
	s_cbranch_vccz .LBB19_24
; %bb.23:                               ;   in Loop: Header=BB19_22 Depth=3
	v_add_nc_u32_e32 v8, s7, v13
	v_mad_u64_u32 v[8:9], null, v8, s28, v[7:8]
	s_cbranch_execnz .LBB19_21
	s_branch .LBB19_25
	.p2align	6
.LBB19_24:                              ;   in Loop: Header=BB19_22 Depth=3
                                        ; implicit-def: $vgpr8
.LBB19_25:                              ;   in Loop: Header=BB19_22 Depth=3
	v_add_nc_u32_e32 v8, v10, v13
	s_branch .LBB19_21
.LBB19_26:                              ;   in Loop: Header=BB19_13 Depth=1
	s_inst_prefetch 0x2
	s_or_b32 exec_lo, exec_lo, s6
	s_andn2_b32 vcc_lo, exec_lo, s40
	s_mul_i32 s37, s36, s28
	s_waitcnt lgkmcnt(0)
	buffer_gl0_inv
	s_cbranch_vccnz .LBB19_49
; %bb.27:                               ;   in Loop: Header=BB19_13 Depth=1
	v_mov_b32_e32 v27, v25
	v_mov_b32_e32 v28, v24
	s_mov_b32 s38, 0
	s_branch .LBB19_29
.LBB19_28:                              ;   in Loop: Header=BB19_29 Depth=2
	s_or_b32 exec_lo, exec_lo, s39
	v_add_nc_u32_e32 v28, 1, v28
	v_add_nc_u32_e32 v27, 0x210, v27
	s_add_i32 s38, s38, 1
	s_cmp_eq_u32 s38, s28
	s_cbranch_scc1 .LBB19_49
.LBB19_29:                              ;   Parent Loop BB19_13 Depth=1
                                        ; =>  This Loop Header: Depth=2
                                        ;       Child Loop BB19_32 Depth 3
                                        ;         Child Loop BB19_43 Depth 4
	s_and_saveexec_b32 s39, s0
	s_cbranch_execz .LBB19_28
; %bb.30:                               ;   in Loop: Header=BB19_29 Depth=2
	s_mul_i32 s6, s38, 0x208
	s_lshl_b32 s7, s38, 3
	v_add_nc_u32_e32 v29, s38, v20
	s_add_i32 s6, s6, s7
	v_mov_b32_e32 v30, v28
	v_mov_b32_e32 v7, s6
	s_add_i32 s45, s38, s37
	v_cmp_gt_i32_e64 s6, s28, v29
	s_mul_i32 s45, s45, s28
	s_mov_b32 s46, 0
	ds_read_b64 v[7:8], v7
	s_waitcnt lgkmcnt(0)
	v_mul_f32_e32 v9, v8, v8
	v_fmac_f32_e32 v9, v7, v7
	v_div_scale_f32 v10, null, v9, v9, 1.0
	v_div_scale_f32 v13, vcc_lo, 1.0, v9, 1.0
	v_rcp_f32_e32 v11, v10
	v_fma_f32 v12, -v10, v11, 1.0
	v_fmac_f32_e32 v11, v12, v11
	v_mul_f32_e32 v12, v13, v11
	v_fma_f32 v14, -v10, v12, v13
	v_fmac_f32_e32 v12, v14, v11
	v_fma_f32 v10, -v10, v12, v13
	v_div_fmas_f32 v10, v10, v11, v12
	v_div_fixup_f32 v31, v10, v9, 1.0
	v_mov_b32_e32 v9, v0
	s_branch .LBB19_32
.LBB19_31:                              ;   in Loop: Header=BB19_32 Depth=3
	s_inst_prefetch 0x2
	s_or_b32 exec_lo, exec_lo, s47
	v_add_nc_u32_e32 v9, 64, v9
	v_add_nc_u32_e32 v30, s41, v30
	v_cmp_le_i32_e32 vcc_lo, s28, v9
	s_or_b32 s46, vcc_lo, s46
	s_andn2_b32 exec_lo, exec_lo, s46
	s_cbranch_execz .LBB19_28
.LBB19_32:                              ;   Parent Loop BB19_13 Depth=1
                                        ;     Parent Loop BB19_29 Depth=2
                                        ; =>    This Loop Header: Depth=3
                                        ;         Child Loop BB19_43 Depth 4
	s_and_b32 vcc_lo, exec_lo, s33
	s_cbranch_vccz .LBB19_47
; %bb.33:                               ;   in Loop: Header=BB19_32 Depth=3
	v_add_nc_u32_e32 v10, s45, v9
	s_cbranch_execnz .LBB19_35
.LBB19_34:                              ;   in Loop: Header=BB19_32 Depth=3
	v_add_nc_u32_e32 v10, s37, v9
	v_mad_u64_u32 v[10:11], null, v10, s28, s[38:39]
.LBB19_35:                              ;   in Loop: Header=BB19_32 Depth=3
	v_ashrrev_i32_e32 v11, 31, v10
	v_lshlrev_b64 v[10:11], 3, v[10:11]
	v_add_co_u32 v10, vcc_lo, s12, v10
	v_add_co_ci_u32_e64 v11, null, s13, v11, vcc_lo
	global_load_dwordx2 v[10:11], v[10:11], off
	s_waitcnt vmcnt(0)
	v_mul_f32_e32 v12, v8, v11
	v_mul_f32_e64 v13, v8, -v10
	v_fmac_f32_e32 v12, v10, v7
	v_fmac_f32_e32 v13, v11, v7
	v_mul_f32_e32 v10, v31, v12
	v_mul_f32_e32 v11, v31, v13
	s_and_saveexec_b32 s7, s3
	s_cbranch_execz .LBB19_40
; %bb.36:                               ;   in Loop: Header=BB19_32 Depth=3
	s_and_b32 vcc_lo, exec_lo, s33
	s_cbranch_vccz .LBB19_48
; %bb.37:                               ;   in Loop: Header=BB19_32 Depth=3
	v_add_nc_u32_e32 v12, s45, v9
	s_cbranch_execnz .LBB19_39
.LBB19_38:                              ;   in Loop: Header=BB19_32 Depth=3
	v_add_nc_u32_e32 v12, s37, v9
	v_mad_u64_u32 v[12:13], null, v12, s28, s[38:39]
.LBB19_39:                              ;   in Loop: Header=BB19_32 Depth=3
	v_ashrrev_i32_e32 v13, 31, v12
	v_lshlrev_b64 v[12:13], 3, v[12:13]
	v_add_co_u32 v12, vcc_lo, s12, v12
	v_add_co_ci_u32_e64 v13, null, s13, v13, vcc_lo
	global_store_dwordx2 v[12:13], v[10:11], off
.LBB19_40:                              ;   in Loop: Header=BB19_32 Depth=3
	s_or_b32 exec_lo, exec_lo, s7
	s_and_saveexec_b32 s47, s6
	s_cbranch_execz .LBB19_31
; %bb.41:                               ;   in Loop: Header=BB19_32 Depth=3
	v_mov_b32_e32 v32, v27
	v_mov_b32_e32 v33, v30
	;; [unrolled: 1-line block ×3, first 2 shown]
	s_mov_b32 s48, 0
	s_inst_prefetch 0x1
	s_branch .LBB19_43
	.p2align	6
.LBB19_42:                              ;   in Loop: Header=BB19_43 Depth=4
	v_ashrrev_i32_e32 v15, 31, v14
	s_waitcnt vmcnt(0) lgkmcnt(0)
	v_fma_f32 v16, -v10, v12, v16
	v_fma_f32 v12, -v11, v12, v17
	v_add_nc_u32_e32 v34, 1, v34
	v_add_nc_u32_e32 v33, 1, v33
	v_lshlrev_b64 v[14:15], 3, v[14:15]
	v_fmac_f32_e32 v16, v11, v13
	v_fma_f32 v17, -v10, v13, v12
	v_cmp_le_i32_e32 vcc_lo, s28, v34
	v_add_nc_u32_e32 v32, 0x208, v32
	v_add_co_u32 v12, s7, s12, v14
	v_add_co_ci_u32_e64 v13, null, s13, v15, s7
	s_or_b32 s48, vcc_lo, s48
	global_store_dwordx2 v[12:13], v[16:17], off
	s_andn2_b32 exec_lo, exec_lo, s48
	s_cbranch_execz .LBB19_31
.LBB19_43:                              ;   Parent Loop BB19_13 Depth=1
                                        ;     Parent Loop BB19_29 Depth=2
                                        ;       Parent Loop BB19_32 Depth=3
                                        ; =>      This Inner Loop Header: Depth=4
	ds_read_b64 v[12:13], v32
	v_add_nc_u32_e32 v35, s37, v34
	v_mov_b32_e32 v14, v33
	s_andn2_b32 vcc_lo, exec_lo, s33
	s_cbranch_vccnz .LBB19_45
; %bb.44:                               ;   in Loop: Header=BB19_43 Depth=4
	v_mad_u64_u32 v[14:15], null, v35, s28, v[9:10]
.LBB19_45:                              ;   in Loop: Header=BB19_43 Depth=4
	v_ashrrev_i32_e32 v15, 31, v14
	v_lshlrev_b64 v[14:15], 3, v[14:15]
	v_add_co_u32 v14, vcc_lo, s12, v14
	v_add_co_ci_u32_e64 v15, null, s13, v15, vcc_lo
	s_andn2_b32 vcc_lo, exec_lo, s33
	global_load_dwordx2 v[16:17], v[14:15], off
	v_mov_b32_e32 v14, v33
	s_cbranch_vccnz .LBB19_42
; %bb.46:                               ;   in Loop: Header=BB19_43 Depth=4
	v_mad_u64_u32 v[14:15], null, v35, s28, v[9:10]
	s_branch .LBB19_42
.LBB19_47:                              ;   in Loop: Header=BB19_32 Depth=3
                                        ; implicit-def: $vgpr10
	s_branch .LBB19_34
.LBB19_48:                              ;   in Loop: Header=BB19_32 Depth=3
                                        ; implicit-def: $vgpr12
	s_branch .LBB19_38
.LBB19_49:                              ;   in Loop: Header=BB19_13 Depth=1
	s_sub_i32 s38, s44, s24
	s_add_i32 s6, s43, 1
	s_waitcnt_vscnt null, 0x0
	buffer_gl0_inv
	s_cmp_ge_i32 s6, s38
	s_cbranch_scc1 .LBB19_90
; %bb.50:                               ;   in Loop: Header=BB19_13 Depth=1
	v_mad_u64_u32 v[7:8], null, s28, s6, v[0:1]
	v_mul_lo_u32 v10, s28, v7
	s_branch .LBB19_54
.LBB19_51:                              ;   in Loop: Header=BB19_54 Depth=2
	s_or_b32 exec_lo, exec_lo, s39
.LBB19_52:                              ;   in Loop: Header=BB19_54 Depth=2
	s_or_b32 exec_lo, exec_lo, s7
.LBB19_53:                              ;   in Loop: Header=BB19_54 Depth=2
	v_add_nc_u32_e32 v10, s42, v10
	s_add_i32 s6, s6, 1
	s_cmp_lt_i32 s6, s38
	s_cbranch_scc0 .LBB19_90
.LBB19_54:                              ;   Parent Loop BB19_13 Depth=1
                                        ; =>  This Loop Header: Depth=2
                                        ;       Child Loop BB19_59 Depth 3
                                        ;       Child Loop BB19_68 Depth 3
                                        ;         Child Loop BB19_71 Depth 4
                                        ;       Child Loop BB19_77 Depth 3
                                        ;         Child Loop BB19_80 Depth 4
                                        ;           Child Loop BB19_82 Depth 5
	s_ashr_i32 s7, s6, 31
	v_mov_b32_e32 v8, s35
	s_lshl_b64 s[44:45], s[6:7], 2
	s_add_u32 s44, s10, s44
	s_addc_u32 s45, s11, s45
	global_load_dword v7, v26, s[44:45]
	s_and_saveexec_b32 s7, s4
	s_cbranch_execz .LBB19_56
; %bb.55:                               ;   in Loop: Header=BB19_54 Depth=2
	global_load_dword v8, v[5:6], off
	s_waitcnt vmcnt(0)
	v_subrev_nc_u32_e32 v8, s24, v8
.LBB19_56:                              ;   in Loop: Header=BB19_54 Depth=2
	s_or_b32 exec_lo, exec_lo, s7
	s_waitcnt vmcnt(0)
	v_subrev_nc_u32_e32 v9, s24, v7
	s_waitcnt lgkmcnt(0)
	v_mov_b32_e32 v11, v4
	s_mov_b32 s7, exec_lo
	v_cmpx_lt_i32_e64 v8, v9
	s_cbranch_execz .LBB19_62
; %bb.57:                               ;   in Loop: Header=BB19_54 Depth=2
	v_mov_b32_e32 v7, v4
	s_mov_b32 s39, 0
	s_branch .LBB19_59
	.p2align	6
.LBB19_58:                              ;   in Loop: Header=BB19_59 Depth=3
	s_or_b32 exec_lo, exec_lo, s43
	v_cmp_ge_i32_e32 vcc_lo, v8, v9
	v_mov_b32_e32 v7, v11
	s_or_b32 s39, vcc_lo, s39
	s_andn2_b32 exec_lo, exec_lo, s39
	s_cbranch_execz .LBB19_61
.LBB19_59:                              ;   Parent Loop BB19_13 Depth=1
                                        ;     Parent Loop BB19_54 Depth=2
                                        ; =>    This Inner Loop Header: Depth=3
	v_add_nc_u32_e32 v11, 64, v7
	v_mov_b32_e32 v8, s35
	s_mov_b32 s43, exec_lo
	v_cmpx_gt_i32_e64 s23, v11
	s_cbranch_execz .LBB19_58
; %bb.60:                               ;   in Loop: Header=BB19_59 Depth=3
	v_ashrrev_i32_e32 v8, 31, v7
	v_lshlrev_b64 v[7:8], 2, v[7:8]
	v_add_co_u32 v7, vcc_lo, s10, v7
	v_add_co_ci_u32_e64 v8, null, s11, v8, vcc_lo
	global_load_dword v7, v[7:8], off offset:256
	s_waitcnt vmcnt(0)
	v_subrev_nc_u32_e32 v8, s24, v7
	s_branch .LBB19_58
.LBB19_61:                              ;   in Loop: Header=BB19_54 Depth=2
	s_or_b32 exec_lo, exec_lo, s39
.LBB19_62:                              ;   in Loop: Header=BB19_54 Depth=2
	s_or_b32 exec_lo, exec_lo, s7
	v_cmp_eq_u32_e32 vcc_lo, v8, v9
	s_cbranch_vccz .LBB19_53
; %bb.63:                               ;   in Loop: Header=BB19_54 Depth=2
	s_ff1_i32_b32 s7, vcc_lo
	s_lshl_b32 s7, s7, 2
	v_mov_b32_e32 v7, s7
	ds_bpermute_b32 v11, v7, v11
	s_and_saveexec_b32 s7, s1
	s_xor_b32 s7, exec_lo, s7
	s_cbranch_execz .LBB19_65
; %bb.64:                               ;   in Loop: Header=BB19_54 Depth=2
	s_waitcnt lgkmcnt(0)
	buffer_gl0_inv
                                        ; implicit-def: $vgpr11
.LBB19_65:                              ;   in Loop: Header=BB19_54 Depth=2
	s_andn2_saveexec_b32 s7, s7
	s_cbranch_execz .LBB19_52
; %bb.66:                               ;   in Loop: Header=BB19_54 Depth=2
	v_mov_b32_e32 v12, v23
	v_mov_b32_e32 v13, v10
	;; [unrolled: 1-line block ×3, first 2 shown]
	s_mul_i32 s43, s6, s28
	s_mov_b32 s39, 0
	s_inst_prefetch 0x1
	s_branch .LBB19_68
	.p2align	6
.LBB19_67:                              ;   in Loop: Header=BB19_68 Depth=3
	s_or_b32 exec_lo, exec_lo, s44
	v_add_nc_u32_e32 v7, 64, v7
	v_add_nc_u32_e32 v13, s41, v13
	;; [unrolled: 1-line block ×3, first 2 shown]
	v_cmp_le_i32_e32 vcc_lo, s28, v7
	s_or_b32 s39, vcc_lo, s39
	s_andn2_b32 exec_lo, exec_lo, s39
	s_cbranch_execz .LBB19_75
.LBB19_68:                              ;   Parent Loop BB19_13 Depth=1
                                        ;     Parent Loop BB19_54 Depth=2
                                        ; =>    This Loop Header: Depth=3
                                        ;         Child Loop BB19_71 Depth 4
	s_and_saveexec_b32 s44, s2
	s_cbranch_execz .LBB19_67
; %bb.69:                               ;   in Loop: Header=BB19_68 Depth=3
	v_mov_b32_e32 v14, v12
	v_mov_b32_e32 v15, v1
	s_mov_b32 s45, 0
	s_branch .LBB19_71
	.p2align	6
.LBB19_70:                              ;   in Loop: Header=BB19_71 Depth=4
	v_ashrrev_i32_e32 v9, 31, v8
	v_add_nc_u32_e32 v15, 1, v15
	v_lshlrev_b64 v[8:9], 3, v[8:9]
	v_add_co_u32 v8, vcc_lo, s12, v8
	v_add_co_ci_u32_e64 v9, null, s13, v9, vcc_lo
	v_cmp_le_i32_e32 vcc_lo, s28, v15
	global_load_dwordx2 v[8:9], v[8:9], off
	s_or_b32 s45, vcc_lo, s45
	s_waitcnt vmcnt(0)
	ds_write_b64 v14, v[8:9]
	v_add_nc_u32_e32 v14, 0x208, v14
	s_andn2_b32 exec_lo, exec_lo, s45
	s_cbranch_execz .LBB19_67
.LBB19_71:                              ;   Parent Loop BB19_13 Depth=1
                                        ;     Parent Loop BB19_54 Depth=2
                                        ;       Parent Loop BB19_68 Depth=3
                                        ; =>      This Inner Loop Header: Depth=4
	s_and_b32 vcc_lo, exec_lo, s33
	s_cbranch_vccz .LBB19_73
; %bb.72:                               ;   in Loop: Header=BB19_71 Depth=4
	v_add_nc_u32_e32 v8, s43, v15
	v_mad_u64_u32 v[8:9], null, v8, s28, v[7:8]
	s_cbranch_execnz .LBB19_70
	s_branch .LBB19_74
	.p2align	6
.LBB19_73:                              ;   in Loop: Header=BB19_71 Depth=4
                                        ; implicit-def: $vgpr8
.LBB19_74:                              ;   in Loop: Header=BB19_71 Depth=4
	v_add_nc_u32_e32 v8, v13, v15
	s_branch .LBB19_70
.LBB19_75:                              ;   in Loop: Header=BB19_54 Depth=2
	s_inst_prefetch 0x2
	s_or_b32 exec_lo, exec_lo, s39
	s_waitcnt lgkmcnt(0)
	v_mul_lo_u32 v11, v11, s28
	v_mov_b32_e32 v12, v21
	v_mov_b32_e32 v7, v0
	s_mov_b32 s39, 0
	buffer_gl0_inv
	s_branch .LBB19_77
.LBB19_76:                              ;   in Loop: Header=BB19_77 Depth=3
	s_or_b32 exec_lo, exec_lo, s43
	v_add_nc_u32_e32 v7, 64, v7
	v_add_nc_u32_e32 v12, s41, v12
	v_cmp_le_i32_e32 vcc_lo, s28, v7
	s_or_b32 s39, vcc_lo, s39
	s_andn2_b32 exec_lo, exec_lo, s39
	s_cbranch_execz .LBB19_51
.LBB19_77:                              ;   Parent Loop BB19_13 Depth=1
                                        ;     Parent Loop BB19_54 Depth=2
                                        ; =>    This Loop Header: Depth=3
                                        ;         Child Loop BB19_80 Depth 4
                                        ;           Child Loop BB19_82 Depth 5
	s_and_saveexec_b32 s43, s2
	s_cbranch_execz .LBB19_76
; %bb.78:                               ;   in Loop: Header=BB19_77 Depth=3
	v_add_nc_u32_e32 v8, v7, v11
	v_mov_b32_e32 v14, v22
	v_mov_b32_e32 v15, v1
	s_mov_b32 s44, 0
	v_mul_lo_u32 v13, v8, s28
	s_branch .LBB19_80
.LBB19_79:                              ;   in Loop: Header=BB19_80 Depth=4
	v_ashrrev_i32_e32 v9, 31, v8
	v_add_nc_u32_e32 v15, 1, v15
	v_add_nc_u32_e32 v14, 0x208, v14
	v_lshlrev_b64 v[8:9], 3, v[8:9]
	v_add_co_u32 v8, vcc_lo, s12, v8
	v_add_co_ci_u32_e64 v9, null, s13, v9, vcc_lo
	v_cmp_le_i32_e32 vcc_lo, s28, v15
	global_load_dwordx2 v[27:28], v[8:9], off
	s_or_b32 s44, vcc_lo, s44
	s_waitcnt vmcnt(0)
	v_sub_f32_e32 v16, v27, v16
	v_sub_f32_e32 v17, v28, v17
	global_store_dwordx2 v[8:9], v[16:17], off
	s_andn2_b32 exec_lo, exec_lo, s44
	s_cbranch_execz .LBB19_76
.LBB19_80:                              ;   Parent Loop BB19_13 Depth=1
                                        ;     Parent Loop BB19_54 Depth=2
                                        ;       Parent Loop BB19_77 Depth=3
                                        ; =>      This Loop Header: Depth=4
                                        ;           Child Loop BB19_82 Depth 5
	v_mov_b32_e32 v16, 0
	v_mov_b32_e32 v27, v14
	;; [unrolled: 1-line block ×3, first 2 shown]
	s_mov_b32 s45, 0
	s_inst_prefetch 0x1
	s_branch .LBB19_82
	.p2align	6
.LBB19_81:                              ;   in Loop: Header=BB19_82 Depth=5
	v_ashrrev_i32_e32 v9, 31, v8
	ds_read_b64 v[28:29], v27
	v_add_nc_u32_e32 v27, 8, v27
	s_add_i32 s45, s45, 1
	s_cmp_eq_u32 s28, s45
	v_lshlrev_b64 v[8:9], 3, v[8:9]
	v_add_co_u32 v8, vcc_lo, s12, v8
	v_add_co_ci_u32_e64 v9, null, s13, v9, vcc_lo
	global_load_dwordx2 v[8:9], v[8:9], off
	s_waitcnt vmcnt(0) lgkmcnt(0)
	v_fmac_f32_e32 v16, v8, v28
	v_fmac_f32_e32 v17, v9, v28
	v_fma_f32 v16, -v9, v29, v16
	v_fmac_f32_e32 v17, v8, v29
	s_cbranch_scc1 .LBB19_86
.LBB19_82:                              ;   Parent Loop BB19_13 Depth=1
                                        ;     Parent Loop BB19_54 Depth=2
                                        ;       Parent Loop BB19_77 Depth=3
                                        ;         Parent Loop BB19_80 Depth=4
                                        ; =>        This Inner Loop Header: Depth=5
	s_and_b32 vcc_lo, exec_lo, s33
	s_cbranch_vccz .LBB19_84
; %bb.83:                               ;   in Loop: Header=BB19_82 Depth=5
	s_add_i32 s46, s45, s37
	v_mad_u64_u32 v[8:9], null, s46, s28, v[7:8]
	s_cbranch_execnz .LBB19_81
	s_branch .LBB19_85
	.p2align	6
.LBB19_84:                              ;   in Loop: Header=BB19_82 Depth=5
                                        ; implicit-def: $vgpr8
.LBB19_85:                              ;   in Loop: Header=BB19_82 Depth=5
	v_add_nc_u32_e32 v8, s45, v12
	s_branch .LBB19_81
.LBB19_86:                              ;   in Loop: Header=BB19_80 Depth=4
	s_inst_prefetch 0x2
	s_and_b32 vcc_lo, exec_lo, s33
	s_cbranch_vccz .LBB19_88
; %bb.87:                               ;   in Loop: Header=BB19_80 Depth=4
	v_add_nc_u32_e32 v8, v15, v11
	v_mad_u64_u32 v[8:9], null, v8, s28, v[7:8]
	s_cbranch_execnz .LBB19_79
	s_branch .LBB19_89
.LBB19_88:                              ;   in Loop: Header=BB19_80 Depth=4
                                        ; implicit-def: $vgpr8
.LBB19_89:                              ;   in Loop: Header=BB19_80 Depth=4
	v_add_nc_u32_e32 v8, v15, v13
	s_branch .LBB19_79
.LBB19_90:                              ;   in Loop: Header=BB19_13 Depth=1
	s_mov_b32 s7, s31
.LBB19_91:                              ;   in Loop: Header=BB19_13 Depth=1
	s_add_i32 s36, s36, 1
	v_add_nc_u32_e32 v24, s42, v24
	s_cmp_lt_i32 s36, s30
	v_add_nc_u32_e32 v21, s42, v21
	s_cselect_b32 s6, -1, 0
	s_and_b32 s5, s5, s6
	s_and_b32 vcc_lo, exec_lo, s5
	s_cbranch_vccz .LBB19_93
; %bb.92:                               ;   in Loop: Header=BB19_13 Depth=1
	s_mov_b32 s31, s7
	s_branch .LBB19_13
.LBB19_93:
	s_ashr_i32 s31, s30, 31
	v_mov_b32_e32 v4, 0
	s_lshl_b64 s[0:1], s[30:31], 2
	s_waitcnt vmcnt(0) lgkmcnt(0)
	s_waitcnt_vscnt null, 0x0
	buffer_gl0_inv
	s_add_u32 s0, s10, s0
	s_addc_u32 s1, s11, s1
	global_load_dword v4, v4, s[0:1]
	s_waitcnt vmcnt(0)
	v_subrev_nc_u32_e32 v4, s24, v4
	v_cmp_ne_u32_e32 vcc_lo, s22, v4
	s_cbranch_vccnz .LBB19_144
; %bb.94:
	v_cmp_gt_i32_e64 s0, s28, v0
	s_and_saveexec_b32 s2, s0
	s_cbranch_execz .LBB19_105
; %bb.95:
	s_mul_i32 s3, s30, s28
	v_lshlrev_b32_e32 v5, 3, v0
	v_add_nc_u32_e32 v4, s3, v0
	v_cmp_gt_u32_e64 s1, s28, v1
	s_cmp_lg_u32 s34, 0
	s_mov_b32 s4, 0
	v_mad_u32_u24 v8, 0x208, v1, v5
	v_mul_lo_u32 v7, s28, v4
	v_mov_b32_e32 v4, v0
	s_cselect_b32 s5, -1, 0
	s_lshl_b32 s6, s28, 6
	s_inst_prefetch 0x1
	s_branch .LBB19_97
	.p2align	6
.LBB19_96:                              ;   in Loop: Header=BB19_97 Depth=1
	s_or_b32 exec_lo, exec_lo, s8
	v_add_nc_u32_e32 v4, 64, v4
	v_add_nc_u32_e32 v7, s6, v7
	;; [unrolled: 1-line block ×3, first 2 shown]
	v_cmp_le_i32_e32 vcc_lo, s28, v4
	s_or_b32 s4, vcc_lo, s4
	s_andn2_b32 exec_lo, exec_lo, s4
	s_cbranch_execz .LBB19_105
.LBB19_97:                              ; =>This Loop Header: Depth=1
                                        ;     Child Loop BB19_100 Depth 2
	s_and_saveexec_b32 s8, s1
	s_cbranch_execz .LBB19_96
; %bb.98:                               ;   in Loop: Header=BB19_97 Depth=1
	v_mov_b32_e32 v9, v8
	v_mov_b32_e32 v10, v1
	s_mov_b32 s9, 0
	s_branch .LBB19_100
	.p2align	6
.LBB19_99:                              ;   in Loop: Header=BB19_100 Depth=2
	v_ashrrev_i32_e32 v6, 31, v5
	v_add_nc_u32_e32 v10, 1, v10
	v_lshlrev_b64 v[5:6], 3, v[5:6]
	v_add_co_u32 v5, vcc_lo, s12, v5
	v_add_co_ci_u32_e64 v6, null, s13, v6, vcc_lo
	v_cmp_le_i32_e32 vcc_lo, s28, v10
	global_load_dwordx2 v[5:6], v[5:6], off
	s_or_b32 s9, vcc_lo, s9
	s_waitcnt vmcnt(0)
	ds_write_b64 v9, v[5:6]
	v_add_nc_u32_e32 v9, 0x208, v9
	s_andn2_b32 exec_lo, exec_lo, s9
	s_cbranch_execz .LBB19_96
.LBB19_100:                             ;   Parent Loop BB19_97 Depth=1
                                        ; =>  This Inner Loop Header: Depth=2
	s_and_b32 vcc_lo, exec_lo, s5
	s_cbranch_vccz .LBB19_102
; %bb.101:                              ;   in Loop: Header=BB19_100 Depth=2
	v_add_nc_u32_e32 v5, s3, v10
	v_mad_u64_u32 v[5:6], null, v5, s28, v[4:5]
	s_cbranch_execnz .LBB19_99
	s_branch .LBB19_103
	.p2align	6
.LBB19_102:                             ;   in Loop: Header=BB19_100 Depth=2
                                        ; implicit-def: $vgpr5
.LBB19_103:                             ;   in Loop: Header=BB19_100 Depth=2
	v_add_nc_u32_e32 v5, v7, v10
	s_branch .LBB19_99
.LBB19_104:
	s_mov_b32 s7, -1
	s_branch .LBB19_179
.LBB19_105:
	s_inst_prefetch 0x2
	s_or_b32 exec_lo, exec_lo, s2
	s_cmp_lt_i32 s28, 1
	s_waitcnt lgkmcnt(0)
	buffer_gl0_inv
	s_cbranch_scc1 .LBB19_133
; %bb.106:
	v_cvt_f64_f32_e32 v[4:5], v19
	v_or_b32_e32 v6, v0, v1
	v_mul_u32_u24_e32 v7, 0x208, v1
	v_lshlrev_b32_e32 v8, 3, v0
	s_cmp_eq_u64 s[16:17], 8
	v_cmp_eq_u32_e64 s1, 0, v1
	s_cselect_b32 vcc_lo, -1, 0
	v_cmp_eq_u32_e64 s2, 0, v6
	v_add3_u32 v8, v7, v8, 0x210
	v_mad_u32_u24 v9, 0x208, v1, 0x208
	s_mov_b32 s4, 0
	v_cndmask_b32_e32 v3, v5, v3, vcc_lo
	v_cndmask_b32_e32 v2, v4, v2, vcc_lo
.LBB19_107:                             ; =>This Loop Header: Depth=1
                                        ;     Child Loop BB19_124 Depth 2
                                        ;       Child Loop BB19_128 Depth 3
	s_mul_i32 s5, s4, 0x208
	s_lshl_b32 s3, s4, 3
	v_cmp_ne_u32_e32 vcc_lo, 1, v18
	s_add_i32 s6, s5, s3
	s_mov_b32 s3, 0
	v_mov_b32_e32 v4, s6
	s_mov_b32 s8, -1
	s_waitcnt lgkmcnt(0)
	ds_read_b64 v[6:7], v4
                                        ; implicit-def: $vgpr4
	s_cbranch_vccz .LBB19_112
; %bb.108:                              ;   in Loop: Header=BB19_107 Depth=1
	s_and_b32 vcc_lo, exec_lo, s8
	s_mov_b32 s8, 0
	s_cbranch_vccnz .LBB19_120
.LBB19_109:                             ;   in Loop: Header=BB19_107 Depth=1
	s_andn2_b32 vcc_lo, exec_lo, s3
                                        ; implicit-def: $sgpr6
	s_cbranch_vccz .LBB19_121
.LBB19_110:                             ;   in Loop: Header=BB19_107 Depth=1
	s_andn2_b32 vcc_lo, exec_lo, s8
	s_cbranch_vccz .LBB19_130
.LBB19_111:                             ;   in Loop: Header=BB19_107 Depth=1
	v_add_nc_u32_e32 v8, 0x210, v8
	v_add_nc_u32_e32 v9, 0x210, v9
	s_cmp_eq_u32 s6, s28
	s_cbranch_scc0 .LBB19_131
	s_branch .LBB19_133
.LBB19_112:                             ;   in Loop: Header=BB19_107 Depth=1
	s_waitcnt lgkmcnt(0)
	v_cmp_gt_f32_e32 vcc_lo, 0, v6
	v_cndmask_b32_e64 v4, v6, -v6, vcc_lo
	v_cmp_gt_f32_e32 vcc_lo, 0, v7
	v_cndmask_b32_e64 v5, v7, -v7, vcc_lo
	v_cmp_ngt_f32_e32 vcc_lo, v4, v5
	s_cbranch_vccz .LBB19_115
; %bb.113:                              ;   in Loop: Header=BB19_107 Depth=1
	v_cmp_eq_f32_e32 vcc_lo, 0, v7
	s_cbranch_vccnz .LBB19_132
; %bb.114:                              ;   in Loop: Header=BB19_107 Depth=1
	v_div_scale_f32 v10, null, v5, v5, v4
	v_div_scale_f32 v13, vcc_lo, v4, v5, v4
	v_rcp_f32_e32 v11, v10
	v_fma_f32 v12, -v10, v11, 1.0
	v_fmac_f32_e32 v11, v12, v11
	v_mul_f32_e32 v12, v13, v11
	v_fma_f32 v14, -v10, v12, v13
	v_fmac_f32_e32 v12, v14, v11
	v_fma_f32 v10, -v10, v12, v13
	v_div_fmas_f32 v10, v10, v11, v12
	v_div_fixup_f32 v10, v10, v5, v4
	v_fma_f32 v10, v10, v10, 1.0
	v_mul_f32_e32 v11, 0x4f800000, v10
	v_cmp_gt_f32_e32 vcc_lo, 0xf800000, v10
	v_cndmask_b32_e32 v10, v10, v11, vcc_lo
	v_sqrt_f32_e32 v11, v10
	v_add_nc_u32_e32 v12, -1, v11
	v_add_nc_u32_e32 v13, 1, v11
	v_fma_f32 v14, -v12, v11, v10
	v_fma_f32 v15, -v13, v11, v10
	v_cmp_ge_f32_e64 s3, 0, v14
	v_cndmask_b32_e64 v11, v11, v12, s3
	v_cmp_lt_f32_e64 s3, 0, v15
	v_cndmask_b32_e64 v11, v11, v13, s3
	v_mul_f32_e32 v12, 0x37800000, v11
	v_cndmask_b32_e32 v11, v11, v12, vcc_lo
	v_cmp_class_f32_e64 vcc_lo, v10, 0x260
	v_cndmask_b32_e32 v10, v11, v10, vcc_lo
	v_mul_f32_e32 v10, v5, v10
	s_cbranch_execz .LBB19_116
	s_branch .LBB19_117
.LBB19_115:                             ;   in Loop: Header=BB19_107 Depth=1
                                        ; implicit-def: $vgpr10
.LBB19_116:                             ;   in Loop: Header=BB19_107 Depth=1
	v_div_scale_f32 v10, null, v4, v4, v5
	v_div_scale_f32 v13, vcc_lo, v5, v4, v5
	v_rcp_f32_e32 v11, v10
	v_fma_f32 v12, -v10, v11, 1.0
	v_fmac_f32_e32 v11, v12, v11
	v_mul_f32_e32 v12, v13, v11
	v_fma_f32 v14, -v10, v12, v13
	v_fmac_f32_e32 v12, v14, v11
	v_fma_f32 v10, -v10, v12, v13
	v_div_fmas_f32 v10, v10, v11, v12
	v_div_fixup_f32 v5, v10, v4, v5
	v_fma_f32 v5, v5, v5, 1.0
	v_mul_f32_e32 v10, 0x4f800000, v5
	v_cmp_gt_f32_e32 vcc_lo, 0xf800000, v5
	v_cndmask_b32_e32 v5, v5, v10, vcc_lo
	v_sqrt_f32_e32 v10, v5
	v_add_nc_u32_e32 v11, -1, v10
	v_add_nc_u32_e32 v12, 1, v10
	v_fma_f32 v13, -v11, v10, v5
	v_fma_f32 v14, -v12, v10, v5
	v_cmp_ge_f32_e64 s3, 0, v13
	v_cndmask_b32_e64 v10, v10, v11, s3
	v_cmp_lt_f32_e64 s3, 0, v14
	v_cndmask_b32_e64 v10, v10, v12, s3
	v_mul_f32_e32 v11, 0x37800000, v10
	v_cndmask_b32_e32 v10, v10, v11, vcc_lo
	v_cmp_class_f32_e64 vcc_lo, v5, 0x260
	v_cndmask_b32_e32 v5, v10, v5, vcc_lo
	v_mul_f32_e32 v10, v4, v5
.LBB19_117:                             ;   in Loop: Header=BB19_107 Depth=1
	v_cvt_f64_f32_e32 v[4:5], v10
	buffer_gl0_inv
	v_cmp_ge_f64_e32 vcc_lo, v[2:3], v[4:5]
	v_cndmask_b32_e64 v5, v7, s29, vcc_lo
	v_cndmask_b32_e64 v4, v6, s25, vcc_lo
	s_and_saveexec_b32 s3, s2
; %bb.118:                              ;   in Loop: Header=BB19_107 Depth=1
	v_mov_b32_e32 v10, s6
	ds_write_b64 v10, v[4:5]
; %bb.119:                              ;   in Loop: Header=BB19_107 Depth=1
	s_or_b32 exec_lo, exec_lo, s3
	s_mov_b32 s3, -1
	s_mov_b32 s8, 0
	s_branch .LBB19_109
.LBB19_120:                             ;   in Loop: Header=BB19_107 Depth=1
	s_waitcnt lgkmcnt(0)
	v_cmp_neq_f32_e32 vcc_lo, 0, v6
	v_cmp_neq_f32_e64 s3, 0, v7
	v_mov_b32_e32 v4, v6
	v_mov_b32_e32 v5, v7
	s_mov_b32 s8, -1
	s_or_b32 s3, vcc_lo, s3
	s_andn2_b32 vcc_lo, exec_lo, s3
                                        ; implicit-def: $sgpr6
	s_cbranch_vccnz .LBB19_110
.LBB19_121:                             ;   in Loop: Header=BB19_107 Depth=1
	s_add_i32 s6, s4, 1
	s_mov_b32 s8, exec_lo
	v_add_nc_u32_e32 v10, s6, v0
	v_cmpx_gt_i32_e64 s28, v10
	s_cbranch_execz .LBB19_129
; %bb.122:                              ;   in Loop: Header=BB19_107 Depth=1
	s_waitcnt lgkmcnt(0)
	v_mul_f32_e32 v6, v5, v5
	s_mov_b32 s9, 0
	v_fmac_f32_e32 v6, v4, v4
	v_div_scale_f32 v7, null, v6, v6, 1.0
	v_div_scale_f32 v13, vcc_lo, 1.0, v6, 1.0
	v_rcp_f32_e32 v12, v7
	v_fma_f32 v11, -v7, v12, 1.0
	v_fmac_f32_e32 v12, v11, v12
	v_mul_f32_e32 v14, v13, v12
	v_fma_f32 v11, -v7, v14, v13
	v_fmac_f32_e32 v14, v11, v12
	v_add_nc_u32_e32 v11, s6, v1
	v_fma_f32 v7, -v7, v14, v13
	v_mov_b32_e32 v13, v8
	v_div_fmas_f32 v7, v7, v12, v14
	v_cmp_gt_i32_e32 vcc_lo, s28, v11
	v_div_fixup_f32 v12, v7, v6, 1.0
	s_branch .LBB19_124
.LBB19_123:                             ;   in Loop: Header=BB19_124 Depth=2
	s_or_b32 exec_lo, exec_lo, s10
	v_add_nc_u32_e32 v10, 64, v10
	v_add_nc_u32_e32 v13, 0x200, v13
	v_cmp_le_i32_e64 s3, s28, v10
	s_or_b32 s9, s3, s9
	s_andn2_b32 exec_lo, exec_lo, s9
	s_cbranch_execz .LBB19_129
.LBB19_124:                             ;   Parent Loop BB19_107 Depth=1
                                        ; =>  This Loop Header: Depth=2
                                        ;       Child Loop BB19_128 Depth 3
	v_lshl_add_u32 v14, v10, 3, s5
	ds_read_b64 v[6:7], v14
	s_waitcnt lgkmcnt(0)
	buffer_gl0_inv
	v_mul_f32_e32 v15, v5, v7
	v_mul_f32_e64 v16, v5, -v6
	v_fmac_f32_e32 v15, v6, v4
	v_fmac_f32_e32 v16, v7, v4
	v_mul_f32_e32 v6, v12, v15
	v_mul_f32_e32 v7, v12, v16
	s_and_saveexec_b32 s3, s1
; %bb.125:                              ;   in Loop: Header=BB19_124 Depth=2
	ds_write_b64 v14, v[6:7]
; %bb.126:                              ;   in Loop: Header=BB19_124 Depth=2
	s_or_b32 exec_lo, exec_lo, s3
	s_and_saveexec_b32 s10, vcc_lo
	s_cbranch_execz .LBB19_123
; %bb.127:                              ;   in Loop: Header=BB19_124 Depth=2
	v_mov_b32_e32 v14, v9
	v_mov_b32_e32 v15, v13
	;; [unrolled: 1-line block ×3, first 2 shown]
	s_mov_b32 s11, 0
	.p2align	6
.LBB19_128:                             ;   Parent Loop BB19_107 Depth=1
                                        ;     Parent Loop BB19_124 Depth=2
                                        ; =>    This Inner Loop Header: Depth=3
	ds_read_b64 v[19:20], v14
	ds_read_b64 v[21:22], v15
	v_add_nc_u32_e32 v16, 1, v16
	v_add_nc_u32_e32 v14, 0x208, v14
	v_cmp_le_i32_e64 s3, s28, v16
	s_or_b32 s11, s3, s11
	s_waitcnt lgkmcnt(0)
	v_fma_f32 v21, -v6, v19, v21
	v_fma_f32 v17, -v7, v19, v22
	v_fmac_f32_e32 v21, v7, v20
	v_fma_f32 v22, -v6, v20, v17
	ds_write_b64 v15, v[21:22]
	v_add_nc_u32_e32 v15, 0x208, v15
	s_andn2_b32 exec_lo, exec_lo, s11
	s_cbranch_execnz .LBB19_128
	s_branch .LBB19_123
.LBB19_129:                             ;   in Loop: Header=BB19_107 Depth=1
	s_or_b32 exec_lo, exec_lo, s8
	s_cbranch_execnz .LBB19_111
.LBB19_130:                             ;   in Loop: Header=BB19_107 Depth=1
	s_add_i32 s6, s4, 1
	s_mov_b32 s7, -1
	v_add_nc_u32_e32 v8, 0x210, v8
	v_add_nc_u32_e32 v9, 0x210, v9
	s_cmp_eq_u32 s6, s28
	s_cbranch_scc1 .LBB19_133
.LBB19_131:                             ;   in Loop: Header=BB19_107 Depth=1
	s_mov_b32 s4, s6
	s_branch .LBB19_107
.LBB19_132:                             ;   in Loop: Header=BB19_107 Depth=1
	v_mov_b32_e32 v10, 0
	s_cbranch_execz .LBB19_116
	s_branch .LBB19_117
.LBB19_133:
	s_waitcnt lgkmcnt(0)
	buffer_gl0_inv
	s_and_saveexec_b32 s2, s0
	s_cbranch_execz .LBB19_143
; %bb.134:
	s_mul_i32 s3, s30, s28
	v_lshlrev_b32_e32 v3, 3, v0
	v_add_nc_u32_e32 v2, s3, v0
	v_cmp_gt_u32_e64 s0, s28, v1
	s_cmp_lg_u32 s34, 0
	s_mov_b32 s4, 0
	v_mad_u32_u24 v6, 0x208, v1, v3
	v_mul_lo_u32 v5, s28, v2
	v_mov_b32_e32 v2, v0
	s_cselect_b32 s5, -1, 0
	s_lshl_b32 s6, s28, 6
	s_inst_prefetch 0x1
	s_branch .LBB19_136
	.p2align	6
.LBB19_135:                             ;   in Loop: Header=BB19_136 Depth=1
	s_or_b32 exec_lo, exec_lo, s8
	v_add_nc_u32_e32 v2, 64, v2
	v_add_nc_u32_e32 v5, s6, v5
	;; [unrolled: 1-line block ×3, first 2 shown]
	v_cmp_le_i32_e32 vcc_lo, s28, v2
	s_or_b32 s4, vcc_lo, s4
	s_andn2_b32 exec_lo, exec_lo, s4
	s_cbranch_execz .LBB19_143
.LBB19_136:                             ; =>This Loop Header: Depth=1
                                        ;     Child Loop BB19_139 Depth 2
	s_and_saveexec_b32 s8, s0
	s_cbranch_execz .LBB19_135
; %bb.137:                              ;   in Loop: Header=BB19_136 Depth=1
	v_mov_b32_e32 v7, v6
	v_mov_b32_e32 v8, v1
	s_mov_b32 s9, 0
	s_branch .LBB19_139
	.p2align	6
.LBB19_138:                             ;   in Loop: Header=BB19_139 Depth=2
	ds_read_b64 v[9:10], v7
	v_ashrrev_i32_e32 v4, 31, v3
	v_add_nc_u32_e32 v8, 1, v8
	v_add_nc_u32_e32 v7, 0x208, v7
	v_lshlrev_b64 v[3:4], 3, v[3:4]
	v_cmp_le_i32_e32 vcc_lo, s28, v8
	s_or_b32 s9, vcc_lo, s9
	v_add_co_u32 v3, s1, s12, v3
	v_add_co_ci_u32_e64 v4, null, s13, v4, s1
	s_waitcnt lgkmcnt(0)
	global_store_dwordx2 v[3:4], v[9:10], off
	s_andn2_b32 exec_lo, exec_lo, s9
	s_cbranch_execz .LBB19_135
.LBB19_139:                             ;   Parent Loop BB19_136 Depth=1
                                        ; =>  This Inner Loop Header: Depth=2
	s_and_b32 vcc_lo, exec_lo, s5
	s_cbranch_vccz .LBB19_141
; %bb.140:                              ;   in Loop: Header=BB19_139 Depth=2
	v_add_nc_u32_e32 v3, s3, v8
	v_mad_u64_u32 v[3:4], null, v3, s28, v[2:3]
	s_cbranch_execnz .LBB19_138
	s_branch .LBB19_142
	.p2align	6
.LBB19_141:                             ;   in Loop: Header=BB19_139 Depth=2
                                        ; implicit-def: $vgpr3
.LBB19_142:                             ;   in Loop: Header=BB19_139 Depth=2
	v_add_nc_u32_e32 v3, v5, v8
	s_branch .LBB19_138
.LBB19_143:
	s_inst_prefetch 0x2
	s_or_b32 exec_lo, exec_lo, s2
.LBB19_144:
	s_add_i32 s3, s30, 1
	s_cmp_ge_i32 s3, s23
	s_cbranch_scc1 .LBB19_179
; %bb.145:
	v_mad_u64_u32 v[2:3], null, s28, s3, v[0:1]
	s_mul_i32 s5, s30, s28
	v_lshlrev_b32_e32 v3, 3, v0
	v_add_nc_u32_e32 v4, s5, v1
	v_mul_u32_u24_e32 v5, 0x208, v0
	v_lshlrev_b32_e32 v9, 3, v1
	s_cmp_lg_u32 s34, 0
	v_cmp_gt_i32_e64 s0, s28, v0
	s_cselect_b32 s4, -1, 0
	s_cmp_gt_i32 s28, 0
	v_cmp_gt_i32_e64 s1, s28, v1
	v_add_nc_u32_e32 v6, 1, v1
	v_mul_lo_u32 v7, s28, v2
	v_mad_u32_u24 v8, 0x208, v1, v3
	v_mad_u64_u32 v[2:3], null, s28, v4, s[28:29]
	v_add3_u32 v9, v5, v9, 8
	s_cselect_b32 s6, -1, 0
	s_mul_i32 s8, s28, s28
	s_lshl_b32 s9, s28, 6
	s_add_i32 s10, s28, 1
.LBB19_146:                             ; =>This Loop Header: Depth=1
                                        ;     Child Loop BB19_149 Depth 2
                                        ;       Child Loop BB19_152 Depth 3
                                        ;     Child Loop BB19_159 Depth 2
                                        ;       Child Loop BB19_162 Depth 3
                                        ;         Child Loop BB19_165 Depth 4
                                        ;     Child Loop BB19_170 Depth 2
                                        ;       Child Loop BB19_173 Depth 3
	s_mul_i32 s11, s3, s28
	s_waitcnt_vscnt null, 0x0
	buffer_gl0_inv
	s_and_saveexec_b32 s2, s0
	s_cbranch_execz .LBB19_156
; %bb.147:                              ;   in Loop: Header=BB19_146 Depth=1
	v_mov_b32_e32 v10, v8
	v_mov_b32_e32 v11, v7
	;; [unrolled: 1-line block ×3, first 2 shown]
	s_mov_b32 s14, 0
	s_inst_prefetch 0x1
	s_branch .LBB19_149
	.p2align	6
.LBB19_148:                             ;   in Loop: Header=BB19_149 Depth=2
	s_or_b32 exec_lo, exec_lo, s15
	v_add_nc_u32_e32 v3, 64, v3
	v_add_nc_u32_e32 v11, s9, v11
	v_add_nc_u32_e32 v10, 0x200, v10
	v_cmp_le_i32_e32 vcc_lo, s28, v3
	s_or_b32 s14, vcc_lo, s14
	s_andn2_b32 exec_lo, exec_lo, s14
	s_cbranch_execz .LBB19_156
.LBB19_149:                             ;   Parent Loop BB19_146 Depth=1
                                        ; =>  This Loop Header: Depth=2
                                        ;       Child Loop BB19_152 Depth 3
	s_and_saveexec_b32 s15, s1
	s_cbranch_execz .LBB19_148
; %bb.150:                              ;   in Loop: Header=BB19_149 Depth=2
	v_mov_b32_e32 v12, v10
	v_mov_b32_e32 v13, v1
	s_mov_b32 s16, 0
	s_branch .LBB19_152
	.p2align	6
.LBB19_151:                             ;   in Loop: Header=BB19_152 Depth=3
	v_ashrrev_i32_e32 v5, 31, v4
	v_add_nc_u32_e32 v13, 1, v13
	v_lshlrev_b64 v[4:5], 3, v[4:5]
	v_add_co_u32 v4, vcc_lo, s12, v4
	v_add_co_ci_u32_e64 v5, null, s13, v5, vcc_lo
	v_cmp_le_i32_e32 vcc_lo, s28, v13
	global_load_dwordx2 v[4:5], v[4:5], off
	s_or_b32 s16, vcc_lo, s16
	s_waitcnt vmcnt(0)
	ds_write_b64 v12, v[4:5]
	v_add_nc_u32_e32 v12, 0x208, v12
	s_andn2_b32 exec_lo, exec_lo, s16
	s_cbranch_execz .LBB19_148
.LBB19_152:                             ;   Parent Loop BB19_146 Depth=1
                                        ;     Parent Loop BB19_149 Depth=2
                                        ; =>    This Inner Loop Header: Depth=3
	s_and_b32 vcc_lo, exec_lo, s4
	s_cbranch_vccz .LBB19_154
; %bb.153:                              ;   in Loop: Header=BB19_152 Depth=3
	v_add_nc_u32_e32 v4, s11, v13
	v_mad_u64_u32 v[4:5], null, v4, s28, v[3:4]
	s_cbranch_execnz .LBB19_151
	s_branch .LBB19_155
	.p2align	6
.LBB19_154:                             ;   in Loop: Header=BB19_152 Depth=3
                                        ; implicit-def: $vgpr4
.LBB19_155:                             ;   in Loop: Header=BB19_152 Depth=3
	v_add_nc_u32_e32 v4, v11, v13
	s_branch .LBB19_151
.LBB19_156:                             ;   in Loop: Header=BB19_146 Depth=1
	s_inst_prefetch 0x2
	s_or_b32 exec_lo, exec_lo, s2
	s_andn2_b32 vcc_lo, exec_lo, s6
	s_waitcnt lgkmcnt(0)
	buffer_gl0_inv
	s_cbranch_vccnz .LBB19_167
; %bb.157:                              ;   in Loop: Header=BB19_146 Depth=1
	v_mov_b32_e32 v5, v9
	v_mov_b32_e32 v10, v2
	s_mov_b32 s14, 0
	s_branch .LBB19_159
.LBB19_158:                             ;   in Loop: Header=BB19_159 Depth=2
	s_or_b32 exec_lo, exec_lo, s15
	v_add_nc_u32_e32 v10, s10, v10
	v_add_nc_u32_e32 v5, 8, v5
	s_add_i32 s14, s14, 1
	s_cmp_eq_u32 s14, s28
	s_cbranch_scc1 .LBB19_167
.LBB19_159:                             ;   Parent Loop BB19_146 Depth=1
                                        ; =>  This Loop Header: Depth=2
                                        ;       Child Loop BB19_162 Depth 3
                                        ;         Child Loop BB19_165 Depth 4
	s_and_saveexec_b32 s15, s0
	s_cbranch_execz .LBB19_158
; %bb.160:                              ;   in Loop: Header=BB19_159 Depth=2
	v_add_nc_u32_e32 v11, s14, v6
	v_mov_b32_e32 v12, v5
	v_mov_b32_e32 v13, v0
	s_add_i32 s16, s14, s5
	s_mov_b32 s17, 0
	v_cmp_gt_i32_e64 s2, s28, v11
	s_mul_i32 s16, s16, s28
	s_branch .LBB19_162
.LBB19_161:                             ;   in Loop: Header=BB19_162 Depth=3
	s_inst_prefetch 0x2
	s_or_b32 exec_lo, exec_lo, s25
	v_add_nc_u32_e32 v13, 64, v13
	v_add_nc_u32_e32 v12, 0x8200, v12
	v_cmp_le_i32_e32 vcc_lo, s28, v13
	s_or_b32 s17, vcc_lo, s17
	s_andn2_b32 exec_lo, exec_lo, s17
	s_cbranch_execz .LBB19_158
.LBB19_162:                             ;   Parent Loop BB19_146 Depth=1
                                        ;     Parent Loop BB19_159 Depth=2
                                        ; =>    This Loop Header: Depth=3
                                        ;         Child Loop BB19_165 Depth 4
	s_and_saveexec_b32 s25, s2
	s_cbranch_execz .LBB19_161
; %bb.163:                              ;   in Loop: Header=BB19_162 Depth=3
	v_mul_lo_u32 v3, 0x208, v13
	v_mov_b32_e32 v14, v12
	v_mov_b32_e32 v15, v10
	;; [unrolled: 1-line block ×3, first 2 shown]
	s_mov_b32 s29, 0
	v_lshl_add_u32 v16, s14, 3, v3
	s_inst_prefetch 0x1
	s_branch .LBB19_165
	.p2align	6
.LBB19_164:                             ;   in Loop: Header=BB19_165 Depth=4
	v_ashrrev_i32_e32 v4, 31, v3
	v_add_nc_u32_e32 v17, 1, v17
	v_add_nc_u32_e32 v15, s28, v15
	v_lshlrev_b64 v[3:4], 3, v[3:4]
	v_add_co_u32 v3, vcc_lo, s12, v3
	v_add_co_ci_u32_e64 v4, null, s13, v4, vcc_lo
	v_cmp_le_i32_e32 vcc_lo, s28, v17
	global_load_dwordx2 v[3:4], v[3:4], off
	ds_read_b64 v[18:19], v16
	ds_read_b64 v[20:21], v14
	s_or_b32 s29, vcc_lo, s29
	s_waitcnt vmcnt(0) lgkmcnt(0)
	v_fma_f32 v20, -v3, v18, v20
	v_fma_f32 v18, -v4, v18, v21
	v_fmac_f32_e32 v20, v4, v19
	v_fma_f32 v21, -v3, v19, v18
	ds_write_b64 v14, v[20:21]
	v_add_nc_u32_e32 v14, 8, v14
	s_andn2_b32 exec_lo, exec_lo, s29
	s_cbranch_execz .LBB19_161
.LBB19_165:                             ;   Parent Loop BB19_146 Depth=1
                                        ;     Parent Loop BB19_159 Depth=2
                                        ;       Parent Loop BB19_162 Depth=3
                                        ; =>      This Inner Loop Header: Depth=4
	v_mov_b32_e32 v3, v15
	s_andn2_b32 vcc_lo, exec_lo, s4
	s_cbranch_vccnz .LBB19_164
; %bb.166:                              ;   in Loop: Header=BB19_165 Depth=4
	v_add_nc_u32_e32 v3, s16, v17
	s_branch .LBB19_164
.LBB19_167:                             ;   in Loop: Header=BB19_146 Depth=1
	s_waitcnt lgkmcnt(0)
	buffer_gl0_inv
	s_and_saveexec_b32 s14, s0
	s_cbranch_execz .LBB19_177
; %bb.168:                              ;   in Loop: Header=BB19_146 Depth=1
	v_mov_b32_e32 v10, v8
	v_mov_b32_e32 v11, v7
	;; [unrolled: 1-line block ×3, first 2 shown]
	s_mov_b32 s15, 0
	s_inst_prefetch 0x1
	s_branch .LBB19_170
	.p2align	6
.LBB19_169:                             ;   in Loop: Header=BB19_170 Depth=2
	s_or_b32 exec_lo, exec_lo, s16
	v_add_nc_u32_e32 v3, 64, v3
	v_add_nc_u32_e32 v11, s9, v11
	v_add_nc_u32_e32 v10, 0x200, v10
	v_cmp_le_i32_e32 vcc_lo, s28, v3
	s_or_b32 s15, vcc_lo, s15
	s_andn2_b32 exec_lo, exec_lo, s15
	s_cbranch_execz .LBB19_177
.LBB19_170:                             ;   Parent Loop BB19_146 Depth=1
                                        ; =>  This Loop Header: Depth=2
                                        ;       Child Loop BB19_173 Depth 3
	s_and_saveexec_b32 s16, s1
	s_cbranch_execz .LBB19_169
; %bb.171:                              ;   in Loop: Header=BB19_170 Depth=2
	v_mov_b32_e32 v12, v10
	v_mov_b32_e32 v13, v1
	s_mov_b32 s17, 0
	s_branch .LBB19_173
	.p2align	6
.LBB19_172:                             ;   in Loop: Header=BB19_173 Depth=3
	ds_read_b64 v[14:15], v12
	v_ashrrev_i32_e32 v5, 31, v4
	v_add_nc_u32_e32 v13, 1, v13
	v_add_nc_u32_e32 v12, 0x208, v12
	v_lshlrev_b64 v[4:5], 3, v[4:5]
	v_cmp_le_i32_e32 vcc_lo, s28, v13
	s_or_b32 s17, vcc_lo, s17
	v_add_co_u32 v4, s2, s12, v4
	v_add_co_ci_u32_e64 v5, null, s13, v5, s2
	s_waitcnt lgkmcnt(0)
	global_store_dwordx2 v[4:5], v[14:15], off
	s_andn2_b32 exec_lo, exec_lo, s17
	s_cbranch_execz .LBB19_169
.LBB19_173:                             ;   Parent Loop BB19_146 Depth=1
                                        ;     Parent Loop BB19_170 Depth=2
                                        ; =>    This Inner Loop Header: Depth=3
	s_and_b32 vcc_lo, exec_lo, s4
	s_cbranch_vccz .LBB19_175
; %bb.174:                              ;   in Loop: Header=BB19_173 Depth=3
	v_add_nc_u32_e32 v4, s11, v13
	v_mad_u64_u32 v[4:5], null, v4, s28, v[3:4]
	s_cbranch_execnz .LBB19_172
	s_branch .LBB19_176
	.p2align	6
.LBB19_175:                             ;   in Loop: Header=BB19_173 Depth=3
                                        ; implicit-def: $vgpr4
.LBB19_176:                             ;   in Loop: Header=BB19_173 Depth=3
	v_add_nc_u32_e32 v4, v11, v13
	s_branch .LBB19_172
.LBB19_177:                             ;   in Loop: Header=BB19_146 Depth=1
	s_inst_prefetch 0x2
	s_or_b32 exec_lo, exec_lo, s14
; %bb.178:                              ;   in Loop: Header=BB19_146 Depth=1
	v_add_nc_u32_e32 v7, s8, v7
	s_add_i32 s3, s3, 1
	s_cmp_ge_i32 s3, s23
	s_cbranch_scc0 .LBB19_146
.LBB19_179:
	v_or_b32_e32 v0, v0, v1
	s_mov_b32 s0, exec_lo
	v_cmpx_eq_u32_e32 0, v0
	s_cbranch_execz .LBB19_183
; %bb.180:
	v_mov_b32_e32 v0, 0
	v_mov_b32_e32 v1, 1
	s_add_u32 s0, s20, s26
	s_addc_u32 s1, s21, s27
	s_andn2_b32 vcc_lo, exec_lo, s7
	s_waitcnt vmcnt(0)
	s_waitcnt_vscnt null, 0x0
	global_store_dword v0, v1, s[0:1]
	s_cbranch_vccnz .LBB19_183
; %bb.181:
	v_mbcnt_lo_u32_b32 v0, exec_lo, 0
	v_cmp_eq_u32_e32 vcc_lo, 0, v0
	s_and_b32 exec_lo, exec_lo, vcc_lo
	s_cbranch_execz .LBB19_183
; %bb.182:
	s_add_i32 s0, s22, s24
	v_mov_b32_e32 v0, 0
	v_mov_b32_e32 v1, s0
	global_atomic_smin v0, v1, s[18:19]
.LBB19_183:
	s_endpgm
	.section	.rodata,"a",@progbits
	.p2align	6, 0x0
	.amdhsa_kernel _ZN9rocsparseL13bsrilu0_33_64ILj64ELj64ELj64E21rocsparse_complex_numIfEEEv20rocsparse_direction_iPKiS5_PT2_S5_iPiS5_S8_21rocsparse_index_base_imNS_24const_host_device_scalarIfEENSA_IdEENSA_IS6_EEb
		.amdhsa_group_segment_fixed_size 33280
		.amdhsa_private_segment_fixed_size 0
		.amdhsa_kernarg_size 116
		.amdhsa_user_sgpr_count 6
		.amdhsa_user_sgpr_private_segment_buffer 1
		.amdhsa_user_sgpr_dispatch_ptr 0
		.amdhsa_user_sgpr_queue_ptr 0
		.amdhsa_user_sgpr_kernarg_segment_ptr 1
		.amdhsa_user_sgpr_dispatch_id 0
		.amdhsa_user_sgpr_flat_scratch_init 0
		.amdhsa_user_sgpr_private_segment_size 0
		.amdhsa_wavefront_size32 1
		.amdhsa_uses_dynamic_stack 0
		.amdhsa_system_sgpr_private_segment_wavefront_offset 0
		.amdhsa_system_sgpr_workgroup_id_x 1
		.amdhsa_system_sgpr_workgroup_id_y 0
		.amdhsa_system_sgpr_workgroup_id_z 0
		.amdhsa_system_sgpr_workgroup_info 0
		.amdhsa_system_vgpr_workitem_id 1
		.amdhsa_next_free_vgpr 193
		.amdhsa_next_free_sgpr 49
		.amdhsa_reserve_vcc 1
		.amdhsa_reserve_flat_scratch 0
		.amdhsa_float_round_mode_32 0
		.amdhsa_float_round_mode_16_64 0
		.amdhsa_float_denorm_mode_32 3
		.amdhsa_float_denorm_mode_16_64 3
		.amdhsa_dx10_clamp 1
		.amdhsa_ieee_mode 1
		.amdhsa_fp16_overflow 0
		.amdhsa_workgroup_processor_mode 1
		.amdhsa_memory_ordered 1
		.amdhsa_forward_progress 1
		.amdhsa_shared_vgpr_count 0
		.amdhsa_exception_fp_ieee_invalid_op 0
		.amdhsa_exception_fp_denorm_src 0
		.amdhsa_exception_fp_ieee_div_zero 0
		.amdhsa_exception_fp_ieee_overflow 0
		.amdhsa_exception_fp_ieee_underflow 0
		.amdhsa_exception_fp_ieee_inexact 0
		.amdhsa_exception_int_div_zero 0
	.end_amdhsa_kernel
	.section	.text._ZN9rocsparseL13bsrilu0_33_64ILj64ELj64ELj64E21rocsparse_complex_numIfEEEv20rocsparse_direction_iPKiS5_PT2_S5_iPiS5_S8_21rocsparse_index_base_imNS_24const_host_device_scalarIfEENSA_IdEENSA_IS6_EEb,"axG",@progbits,_ZN9rocsparseL13bsrilu0_33_64ILj64ELj64ELj64E21rocsparse_complex_numIfEEEv20rocsparse_direction_iPKiS5_PT2_S5_iPiS5_S8_21rocsparse_index_base_imNS_24const_host_device_scalarIfEENSA_IdEENSA_IS6_EEb,comdat
.Lfunc_end19:
	.size	_ZN9rocsparseL13bsrilu0_33_64ILj64ELj64ELj64E21rocsparse_complex_numIfEEEv20rocsparse_direction_iPKiS5_PT2_S5_iPiS5_S8_21rocsparse_index_base_imNS_24const_host_device_scalarIfEENSA_IdEENSA_IS6_EEb, .Lfunc_end19-_ZN9rocsparseL13bsrilu0_33_64ILj64ELj64ELj64E21rocsparse_complex_numIfEEEv20rocsparse_direction_iPKiS5_PT2_S5_iPiS5_S8_21rocsparse_index_base_imNS_24const_host_device_scalarIfEENSA_IdEENSA_IS6_EEb
                                        ; -- End function
	.set _ZN9rocsparseL13bsrilu0_33_64ILj64ELj64ELj64E21rocsparse_complex_numIfEEEv20rocsparse_direction_iPKiS5_PT2_S5_iPiS5_S8_21rocsparse_index_base_imNS_24const_host_device_scalarIfEENSA_IdEENSA_IS6_EEb.num_vgpr, 36
	.set _ZN9rocsparseL13bsrilu0_33_64ILj64ELj64ELj64E21rocsparse_complex_numIfEEEv20rocsparse_direction_iPKiS5_PT2_S5_iPiS5_S8_21rocsparse_index_base_imNS_24const_host_device_scalarIfEENSA_IdEENSA_IS6_EEb.num_agpr, 0
	.set _ZN9rocsparseL13bsrilu0_33_64ILj64ELj64ELj64E21rocsparse_complex_numIfEEEv20rocsparse_direction_iPKiS5_PT2_S5_iPiS5_S8_21rocsparse_index_base_imNS_24const_host_device_scalarIfEENSA_IdEENSA_IS6_EEb.numbered_sgpr, 49
	.set _ZN9rocsparseL13bsrilu0_33_64ILj64ELj64ELj64E21rocsparse_complex_numIfEEEv20rocsparse_direction_iPKiS5_PT2_S5_iPiS5_S8_21rocsparse_index_base_imNS_24const_host_device_scalarIfEENSA_IdEENSA_IS6_EEb.num_named_barrier, 0
	.set _ZN9rocsparseL13bsrilu0_33_64ILj64ELj64ELj64E21rocsparse_complex_numIfEEEv20rocsparse_direction_iPKiS5_PT2_S5_iPiS5_S8_21rocsparse_index_base_imNS_24const_host_device_scalarIfEENSA_IdEENSA_IS6_EEb.private_seg_size, 0
	.set _ZN9rocsparseL13bsrilu0_33_64ILj64ELj64ELj64E21rocsparse_complex_numIfEEEv20rocsparse_direction_iPKiS5_PT2_S5_iPiS5_S8_21rocsparse_index_base_imNS_24const_host_device_scalarIfEENSA_IdEENSA_IS6_EEb.uses_vcc, 1
	.set _ZN9rocsparseL13bsrilu0_33_64ILj64ELj64ELj64E21rocsparse_complex_numIfEEEv20rocsparse_direction_iPKiS5_PT2_S5_iPiS5_S8_21rocsparse_index_base_imNS_24const_host_device_scalarIfEENSA_IdEENSA_IS6_EEb.uses_flat_scratch, 0
	.set _ZN9rocsparseL13bsrilu0_33_64ILj64ELj64ELj64E21rocsparse_complex_numIfEEEv20rocsparse_direction_iPKiS5_PT2_S5_iPiS5_S8_21rocsparse_index_base_imNS_24const_host_device_scalarIfEENSA_IdEENSA_IS6_EEb.has_dyn_sized_stack, 0
	.set _ZN9rocsparseL13bsrilu0_33_64ILj64ELj64ELj64E21rocsparse_complex_numIfEEEv20rocsparse_direction_iPKiS5_PT2_S5_iPiS5_S8_21rocsparse_index_base_imNS_24const_host_device_scalarIfEENSA_IdEENSA_IS6_EEb.has_recursion, 0
	.set _ZN9rocsparseL13bsrilu0_33_64ILj64ELj64ELj64E21rocsparse_complex_numIfEEEv20rocsparse_direction_iPKiS5_PT2_S5_iPiS5_S8_21rocsparse_index_base_imNS_24const_host_device_scalarIfEENSA_IdEENSA_IS6_EEb.has_indirect_call, 0
	.section	.AMDGPU.csdata,"",@progbits
; Kernel info:
; codeLenInByte = 5828
; TotalNumSgprs: 51
; NumVgprs: 36
; ScratchSize: 0
; MemoryBound: 0
; FloatMode: 240
; IeeeMode: 1
; LDSByteSize: 33280 bytes/workgroup (compile time only)
; SGPRBlocks: 0
; VGPRBlocks: 24
; NumSGPRsForWavesPerEU: 51
; NumVGPRsForWavesPerEU: 193
; Occupancy: 2
; WaveLimiterHint : 1
; COMPUTE_PGM_RSRC2:SCRATCH_EN: 0
; COMPUTE_PGM_RSRC2:USER_SGPR: 6
; COMPUTE_PGM_RSRC2:TRAP_HANDLER: 0
; COMPUTE_PGM_RSRC2:TGID_X_EN: 1
; COMPUTE_PGM_RSRC2:TGID_Y_EN: 0
; COMPUTE_PGM_RSRC2:TGID_Z_EN: 0
; COMPUTE_PGM_RSRC2:TIDIG_COMP_CNT: 1
	.section	.text._ZN9rocsparseL15bsrilu0_generalILj128ELj64ELb0E21rocsparse_complex_numIfEEEv20rocsparse_direction_iPKiS5_PT2_S5_iPiS5_S8_21rocsparse_index_base_imNS_24const_host_device_scalarIfEENSA_IdEENSA_IS6_EEb,"axG",@progbits,_ZN9rocsparseL15bsrilu0_generalILj128ELj64ELb0E21rocsparse_complex_numIfEEEv20rocsparse_direction_iPKiS5_PT2_S5_iPiS5_S8_21rocsparse_index_base_imNS_24const_host_device_scalarIfEENSA_IdEENSA_IS6_EEb,comdat
	.globl	_ZN9rocsparseL15bsrilu0_generalILj128ELj64ELb0E21rocsparse_complex_numIfEEEv20rocsparse_direction_iPKiS5_PT2_S5_iPiS5_S8_21rocsparse_index_base_imNS_24const_host_device_scalarIfEENSA_IdEENSA_IS6_EEb ; -- Begin function _ZN9rocsparseL15bsrilu0_generalILj128ELj64ELb0E21rocsparse_complex_numIfEEEv20rocsparse_direction_iPKiS5_PT2_S5_iPiS5_S8_21rocsparse_index_base_imNS_24const_host_device_scalarIfEENSA_IdEENSA_IS6_EEb
	.p2align	8
	.type	_ZN9rocsparseL15bsrilu0_generalILj128ELj64ELb0E21rocsparse_complex_numIfEEEv20rocsparse_direction_iPKiS5_PT2_S5_iPiS5_S8_21rocsparse_index_base_imNS_24const_host_device_scalarIfEENSA_IdEENSA_IS6_EEb,@function
_ZN9rocsparseL15bsrilu0_generalILj128ELj64ELb0E21rocsparse_complex_numIfEEEv20rocsparse_direction_iPKiS5_PT2_S5_iPiS5_S8_21rocsparse_index_base_imNS_24const_host_device_scalarIfEENSA_IdEENSA_IS6_EEb: ; @_ZN9rocsparseL15bsrilu0_generalILj128ELj64ELb0E21rocsparse_complex_numIfEEEv20rocsparse_direction_iPKiS5_PT2_S5_iPiS5_S8_21rocsparse_index_base_imNS_24const_host_device_scalarIfEENSA_IdEENSA_IS6_EEb
; %bb.0:
	s_clause 0x2
	s_load_dword s0, s[4:5], 0x70
	s_load_dwordx2 s[24:25], s[4:5], 0x48
	s_load_dwordx8 s[16:23], s[4:5], 0x50
	s_waitcnt lgkmcnt(0)
	s_bitcmp1_b32 s0, 0
	s_cselect_b32 s2, -1, 0
	s_cmp_eq_u32 s25, 0
	s_cselect_b32 s8, -1, 0
	s_cmp_lg_u32 s25, 0
	s_cselect_b32 s3, -1, 0
	s_or_b32 s9, s8, s2
	s_xor_b32 s7, s9, -1
	s_and_b32 s0, s8, exec_lo
	s_cselect_b32 s1, 0, s21
	s_cselect_b32 s0, 0, s20
	s_and_b32 vcc_lo, exec_lo, s9
	s_cbranch_vccnz .LBB20_2
; %bb.1:
	s_load_dword s0, s[18:19], 0x0
	s_waitcnt lgkmcnt(0)
	v_mov_b32_e32 v26, s0
	s_mov_b64 s[0:1], s[20:21]
	v_mov_b32_e32 v7, s1
	v_mov_b32_e32 v6, s0
	s_andn2_b32 vcc_lo, exec_lo, s7
	s_cbranch_vccz .LBB20_3
	s_branch .LBB20_4
.LBB20_2:
	v_cndmask_b32_e64 v26, s18, 0, s8
	v_mov_b32_e32 v7, s1
	v_mov_b32_e32 v6, s0
	s_andn2_b32 vcc_lo, exec_lo, s7
	s_cbranch_vccnz .LBB20_4
.LBB20_3:
	v_mov_b32_e32 v1, s20
	v_mov_b32_e32 v2, s21
	flat_load_dwordx2 v[6:7], v[1:2]
.LBB20_4:
	v_cndmask_b32_e64 v25, 0, 1, s3
	s_mov_b32 s25, 0
	s_andn2_b32 vcc_lo, exec_lo, s3
	s_mov_b32 s28, s25
	s_cbranch_vccnz .LBB20_10
; %bb.5:
	s_xor_b32 s0, s2, -1
	s_mov_b32 s25, s22
	v_cndmask_b32_e64 v1, 0, 1, s0
	s_andn2_b32 vcc_lo, exec_lo, s0
	s_cbranch_vccnz .LBB20_7
; %bb.6:
	s_load_dword s25, s[22:23], 0x0
.LBB20_7:
	v_cmp_ne_u32_e32 vcc_lo, 1, v1
	s_cbranch_vccnz .LBB20_9
; %bb.8:
	s_load_dword s23, s[22:23], 0x4
.LBB20_9:
	s_waitcnt lgkmcnt(0)
	s_mov_b32 s28, s23
.LBB20_10:
	s_load_dwordx2 s[26:27], s[4:5], 0x0
	v_lshrrev_b32_e32 v1, 6, v0
	s_lshl_b32 s0, s6, 1
	v_and_or_b32 v1, 0x3fffffe, s0, v1
	s_mov_b32 s0, exec_lo
	s_waitcnt lgkmcnt(0)
	v_cmpx_gt_i32_e64 s27, v1
	s_cbranch_execz .LBB20_149
; %bb.11:
	s_clause 0x1
	s_load_dwordx4 s[20:23], s[4:5], 0x30
	s_load_dwordx2 s[6:7], s[4:5], 0x40
	v_lshlrev_b32_e32 v1, 2, v1
	s_load_dwordx8 s[8:15], s[4:5], 0x8
	v_and_b32_e32 v0, 63, v0
	s_mov_b32 s0, -1
	s_mov_b32 s19, exec_lo
	s_waitcnt lgkmcnt(0)
	global_load_dword v1, v1, s[22:23]
	s_waitcnt vmcnt(0)
	v_ashrrev_i32_e32 v2, 31, v1
	v_lshlrev_b64 v[2:3], 2, v[1:2]
	v_add_co_u32 v4, vcc_lo, s14, v2
	v_add_co_ci_u32_e64 v5, null, s15, v3, vcc_lo
	global_load_dword v4, v[4:5], off
	s_waitcnt vmcnt(0)
	v_cmpx_ne_u32_e32 -1, v4
	s_cbranch_execz .LBB20_143
; %bb.12:
	v_add_co_u32 v8, vcc_lo, s8, v2
	v_add_co_ci_u32_e64 v9, null, s9, v3, vcc_lo
	s_load_dword s18, s[4:5], 0x28
	s_mov_b32 s3, 0
	s_mov_b32 s5, exec_lo
	global_load_dwordx2 v[8:9], v[8:9], off
	s_waitcnt vmcnt(0)
	v_subrev_nc_u32_e32 v8, s24, v8
	v_subrev_nc_u32_e32 v24, s24, v9
	v_cmpx_lt_i32_e64 v8, v4
	s_cbranch_execz .LBB20_78
; %bb.13:
	v_add_nc_u32_e32 v10, v8, v0
	s_waitcnt lgkmcnt(0)
	v_mad_u64_u32 v[12:13], null, s18, v8, v[0:1]
	s_cmp_gt_i32 s18, 0
	v_cmp_gt_i32_e64 s0, s18, v0
	v_ashrrev_i32_e32 v11, 31, v10
	v_cmp_le_i32_e64 s1, s18, v0
	v_cmp_lt_i32_e64 s2, v10, v24
	s_cselect_b32 s22, -1, 0
	v_mul_lo_u32 v27, s18, v12
	v_lshlrev_b64 v[13:14], 2, v[10:11]
	s_cmp_lg_u32 s26, 0
	s_mov_b32 s29, 0
	s_cselect_b32 s23, -1, 0
	s_add_i32 s27, s27, 1
	s_mul_i32 s30, s18, s18
	v_add_co_u32 v11, vcc_lo, s10, v13
	v_add_co_ci_u32_e64 v12, null, s11, v14, vcc_lo
	v_add_nc_u32_e32 v28, 1, v27
	s_add_i32 s31, s18, 1
	s_lshl_b32 s33, s18, 6
	s_add_i32 s34, s18, -1
	s_mov_b32 s35, 0
                                        ; implicit-def: $sgpr36
                                        ; implicit-def: $sgpr37
	s_branch .LBB20_16
.LBB20_14:                              ;   in Loop: Header=BB20_16 Depth=1
	s_or_b32 exec_lo, exec_lo, s4
	s_andn2_b32 s4, s37, exec_lo
	s_and_b32 s29, s29, exec_lo
	s_or_b32 s37, s4, s29
.LBB20_15:                              ;   in Loop: Header=BB20_16 Depth=1
	s_or_b32 exec_lo, exec_lo, s38
	v_add_nc_u32_e32 v8, 1, v8
	s_xor_b32 s3, s3, -1
	v_add_nc_u32_e32 v28, s30, v28
	v_add_nc_u32_e32 v27, s30, v27
	s_mov_b32 s29, s37
	v_cmp_ge_i32_e32 vcc_lo, v8, v4
	s_or_b32 s3, s3, vcc_lo
	s_and_b32 s3, exec_lo, s3
	s_or_b32 s35, s3, s35
	s_andn2_b32 s3, s36, exec_lo
	s_and_b32 s4, s37, exec_lo
	s_or_b32 s36, s3, s4
	s_andn2_b32 exec_lo, exec_lo, s35
	s_cbranch_execz .LBB20_77
.LBB20_16:                              ; =>This Loop Header: Depth=1
                                        ;     Child Loop BB20_19 Depth 2
                                        ;     Child Loop BB20_24 Depth 2
                                        ;       Child Loop BB20_29 Depth 3
                                        ;         Child Loop BB20_38 Depth 4
                                        ;     Child Loop BB20_51 Depth 2
                                        ;       Child Loop BB20_56 Depth 3
                                        ;       Child Loop BB20_63 Depth 3
                                        ;         Child Loop BB20_65 Depth 4
                                        ;           Child Loop BB20_67 Depth 5
	v_ashrrev_i32_e32 v9, 31, v8
	s_or_b32 s37, s37, exec_lo
	v_lshlrev_b64 v[13:14], 2, v[8:9]
	v_add_co_u32 v13, vcc_lo, s10, v13
	v_add_co_ci_u32_e64 v14, null, s11, v14, vcc_lo
	s_waitcnt lgkmcnt(0)
	global_load_dword v5, v[13:14], off
	s_waitcnt vmcnt(0)
	v_subrev_nc_u32_e32 v13, s24, v5
	v_ashrrev_i32_e32 v14, 31, v13
	v_lshlrev_b64 v[13:14], 2, v[13:14]
	v_add_co_u32 v15, vcc_lo, s14, v13
	v_add_co_ci_u32_e64 v16, null, s15, v14, vcc_lo
	global_load_dword v30, v[15:16], off
	s_waitcnt vmcnt(0)
	v_cmp_ne_u32_e64 s3, -1, v30
	s_and_saveexec_b32 s38, s3
	s_cbranch_execz .LBB20_15
; %bb.17:                               ;   in Loop: Header=BB20_16 Depth=1
	v_add_co_u32 v15, vcc_lo, s8, v13
	v_add_co_ci_u32_e64 v16, null, s9, v14, vcc_lo
	v_add_co_u32 v13, vcc_lo, s20, v13
	v_add_co_ci_u32_e64 v14, null, s21, v14, vcc_lo
	global_load_dword v31, v[15:16], off offset:4
	global_load_dword v5, v[13:14], off glc dlc
	s_mov_b32 s4, exec_lo
	s_waitcnt vmcnt(0)
	v_cmpx_eq_u32_e32 0, v5
	s_cbranch_execz .LBB20_20
; %bb.18:                               ;   in Loop: Header=BB20_16 Depth=1
	s_mov_b32 s39, 0
.LBB20_19:                              ;   Parent Loop BB20_16 Depth=1
                                        ; =>  This Inner Loop Header: Depth=2
	global_load_dword v5, v[13:14], off glc dlc
	s_waitcnt vmcnt(0)
	v_cmp_ne_u32_e32 vcc_lo, 0, v5
	s_or_b32 s39, vcc_lo, s39
	s_andn2_b32 exec_lo, exec_lo, s39
	s_cbranch_execnz .LBB20_19
.LBB20_20:                              ;   in Loop: Header=BB20_16 Depth=1
	s_or_b32 exec_lo, exec_lo, s4
	v_mul_lo_u32 v29, v8, s18
	s_andn2_b32 vcc_lo, exec_lo, s22
	buffer_gl1_inv
	buffer_gl0_inv
	s_cbranch_vccnz .LBB20_47
; %bb.21:                               ;   in Loop: Header=BB20_16 Depth=1
	v_mul_lo_u32 v32, v30, s18
	v_mad_u64_u32 v[13:14], null, s30, v30, 1
	v_mov_b32_e32 v5, 0
	v_mov_b32_e32 v33, v28
	s_mov_b32 s39, 0
	s_mov_b32 s40, s34
	s_branch .LBB20_24
.LBB20_22:                              ;   in Loop: Header=BB20_24 Depth=2
	s_or_b32 exec_lo, exec_lo, s42
	v_mov_b32_e32 v5, v34
.LBB20_23:                              ;   in Loop: Header=BB20_24 Depth=2
	s_or_b32 exec_lo, exec_lo, s41
	v_cmp_eq_u32_e32 vcc_lo, s18, v5
	v_add_nc_u32_e32 v13, s31, v13
	v_add_nc_u32_e32 v33, 1, v33
	s_add_i32 s40, s40, -1
	s_or_b32 s39, vcc_lo, s39
	s_andn2_b32 exec_lo, exec_lo, s39
	s_cbranch_execz .LBB20_46
.LBB20_24:                              ;   Parent Loop BB20_16 Depth=1
                                        ; =>  This Loop Header: Depth=2
                                        ;       Child Loop BB20_29 Depth 3
                                        ;         Child Loop BB20_38 Depth 4
	v_add_nc_u32_e32 v34, 1, v5
	s_and_saveexec_b32 s4, s1
	s_xor_b32 s4, exec_lo, s4
; %bb.25:                               ;   in Loop: Header=BB20_24 Depth=2
	v_add_nc_u32_e32 v5, 1, v5
                                        ; implicit-def: $vgpr34
; %bb.26:                               ;   in Loop: Header=BB20_24 Depth=2
	s_andn2_saveexec_b32 s41, s4
	s_cbranch_execz .LBB20_23
; %bb.27:                               ;   in Loop: Header=BB20_24 Depth=2
	v_add_nc_u32_e32 v9, v5, v32
	v_cmp_gt_i32_e64 s4, s18, v34
	v_mov_b32_e32 v36, v33
	s_mov_b32 s42, 0
	v_mad_u64_u32 v[14:15], null, v9, s18, v[5:6]
	v_ashrrev_i32_e32 v15, 31, v14
	v_lshlrev_b64 v[14:15], 3, v[14:15]
	v_add_co_u32 v14, vcc_lo, s12, v14
	v_add_co_ci_u32_e64 v15, null, s13, v15, vcc_lo
	global_load_dwordx2 v[14:15], v[14:15], off
	s_waitcnt vmcnt(0)
	v_mul_f32_e32 v9, v15, v15
	v_fmac_f32_e32 v9, v14, v14
	v_div_scale_f32 v16, null, v9, v9, 1.0
	v_div_scale_f32 v19, vcc_lo, 1.0, v9, 1.0
	v_rcp_f32_e32 v17, v16
	v_fma_f32 v18, -v16, v17, 1.0
	v_fmac_f32_e32 v17, v18, v17
	v_mul_f32_e32 v18, v19, v17
	v_fma_f32 v20, -v16, v18, v19
	v_fmac_f32_e32 v18, v20, v17
	v_fma_f32 v16, -v16, v18, v19
	v_add_nc_u32_e32 v19, v5, v29
	v_div_fmas_f32 v16, v16, v17, v18
	v_mul_lo_u32 v35, v19, s18
	v_div_fixup_f32 v37, v16, v9, 1.0
	v_mov_b32_e32 v9, v0
	s_branch .LBB20_29
.LBB20_28:                              ;   in Loop: Header=BB20_29 Depth=3
	s_or_b32 exec_lo, exec_lo, s43
	v_add_nc_u32_e32 v9, 64, v9
	v_add_nc_u32_e32 v36, s33, v36
	v_cmp_le_i32_e32 vcc_lo, s18, v9
	s_or_b32 s42, vcc_lo, s42
	s_andn2_b32 exec_lo, exec_lo, s42
	s_cbranch_execz .LBB20_22
.LBB20_29:                              ;   Parent Loop BB20_16 Depth=1
                                        ;     Parent Loop BB20_24 Depth=2
                                        ; =>    This Loop Header: Depth=3
                                        ;         Child Loop BB20_38 Depth 4
	v_add_nc_u32_e32 v16, v9, v35
	s_and_b32 vcc_lo, exec_lo, s23
	s_cbranch_vccz .LBB20_44
; %bb.30:                               ;   in Loop: Header=BB20_29 Depth=3
	v_add_nc_u32_e32 v17, v9, v35
	v_add_nc_u32_e32 v20, v9, v29
	s_cbranch_execnz .LBB20_32
.LBB20_31:                              ;   in Loop: Header=BB20_29 Depth=3
	v_mad_u64_u32 v[17:18], null, v20, s18, v[5:6]
.LBB20_32:                              ;   in Loop: Header=BB20_29 Depth=3
	v_ashrrev_i32_e32 v18, 31, v17
	v_lshlrev_b64 v[17:18], 3, v[17:18]
	v_add_co_u32 v17, vcc_lo, s12, v17
	v_add_co_ci_u32_e64 v18, null, s13, v18, vcc_lo
	s_and_b32 vcc_lo, exec_lo, s23
	global_load_dwordx2 v[18:19], v[17:18], off
	s_cbranch_vccz .LBB20_45
; %bb.33:                               ;   in Loop: Header=BB20_29 Depth=3
	s_cbranch_execnz .LBB20_35
.LBB20_34:                              ;   in Loop: Header=BB20_29 Depth=3
	v_mad_u64_u32 v[16:17], null, v20, s18, v[5:6]
.LBB20_35:                              ;   in Loop: Header=BB20_29 Depth=3
	s_waitcnt vmcnt(0)
	v_mul_f32_e32 v20, v15, v19
	v_mul_f32_e64 v21, v15, -v18
	v_ashrrev_i32_e32 v17, 31, v16
	v_fmac_f32_e32 v20, v18, v14
	v_fmac_f32_e32 v21, v19, v14
	v_lshlrev_b64 v[18:19], 3, v[16:17]
	v_mul_f32_e32 v16, v37, v20
	v_mul_f32_e32 v17, v37, v21
	v_add_co_u32 v18, vcc_lo, s12, v18
	v_add_co_ci_u32_e64 v19, null, s13, v19, vcc_lo
	global_store_dwordx2 v[18:19], v[16:17], off
	s_and_saveexec_b32 s43, s4
	s_cbranch_execz .LBB20_28
; %bb.36:                               ;   in Loop: Header=BB20_29 Depth=3
	v_mov_b32_e32 v38, v36
	v_mov_b32_e32 v39, v13
	;; [unrolled: 1-line block ×3, first 2 shown]
	s_mov_b32 s44, s40
	s_branch .LBB20_38
.LBB20_37:                              ;   in Loop: Header=BB20_38 Depth=4
	v_ashrrev_i32_e32 v23, 31, v22
	s_waitcnt vmcnt(0)
	v_fma_f32 v20, -v16, v18, v20
	v_fma_f32 v18, -v17, v18, v21
	v_add_nc_u32_e32 v40, 1, v40
	v_add_nc_u32_e32 v39, 1, v39
	v_lshlrev_b64 v[22:23], 3, v[22:23]
	v_fmac_f32_e32 v20, v17, v19
	v_fma_f32 v21, -v16, v19, v18
	v_add_nc_u32_e32 v38, 1, v38
	s_add_i32 s44, s44, -1
	s_cmp_eq_u32 s44, 0
	v_add_co_u32 v18, vcc_lo, s12, v22
	v_add_co_ci_u32_e64 v19, null, s13, v23, vcc_lo
	global_store_dwordx2 v[18:19], v[20:21], off
	s_cbranch_scc1 .LBB20_28
.LBB20_38:                              ;   Parent Loop BB20_16 Depth=1
                                        ;     Parent Loop BB20_24 Depth=2
                                        ;       Parent Loop BB20_29 Depth=3
                                        ; =>      This Inner Loop Header: Depth=4
	v_mov_b32_e32 v18, v39
	s_andn2_b32 vcc_lo, exec_lo, s23
	s_cbranch_vccnz .LBB20_40
; %bb.39:                               ;   in Loop: Header=BB20_38 Depth=4
	v_add_nc_u32_e32 v18, v40, v32
	v_mad_u64_u32 v[18:19], null, v18, s18, v[5:6]
.LBB20_40:                              ;   in Loop: Header=BB20_38 Depth=4
	v_ashrrev_i32_e32 v19, 31, v18
	v_add_nc_u32_e32 v23, v40, v29
	v_mov_b32_e32 v20, v38
	v_lshlrev_b64 v[18:19], 3, v[18:19]
	v_add_co_u32 v18, vcc_lo, s12, v18
	v_add_co_ci_u32_e64 v19, null, s13, v19, vcc_lo
	s_andn2_b32 vcc_lo, exec_lo, s23
	global_load_dwordx2 v[18:19], v[18:19], off
	s_cbranch_vccnz .LBB20_42
; %bb.41:                               ;   in Loop: Header=BB20_38 Depth=4
	v_mad_u64_u32 v[20:21], null, v23, s18, v[9:10]
.LBB20_42:                              ;   in Loop: Header=BB20_38 Depth=4
	v_ashrrev_i32_e32 v21, 31, v20
	v_mov_b32_e32 v22, v38
	v_lshlrev_b64 v[20:21], 3, v[20:21]
	v_add_co_u32 v20, vcc_lo, s12, v20
	v_add_co_ci_u32_e64 v21, null, s13, v21, vcc_lo
	s_andn2_b32 vcc_lo, exec_lo, s23
	global_load_dwordx2 v[20:21], v[20:21], off
	s_cbranch_vccnz .LBB20_37
; %bb.43:                               ;   in Loop: Header=BB20_38 Depth=4
	v_mad_u64_u32 v[22:23], null, v23, s18, v[9:10]
	s_branch .LBB20_37
.LBB20_44:                              ;   in Loop: Header=BB20_29 Depth=3
                                        ; implicit-def: $vgpr17
	v_add_nc_u32_e32 v20, v9, v29
	s_branch .LBB20_31
.LBB20_45:                              ;   in Loop: Header=BB20_29 Depth=3
                                        ; implicit-def: $vgpr16
	s_branch .LBB20_34
.LBB20_46:                              ;   in Loop: Header=BB20_16 Depth=1
	s_or_b32 exec_lo, exec_lo, s39
.LBB20_47:                              ;   in Loop: Header=BB20_16 Depth=1
	v_subrev_nc_u32_e32 v9, s24, v31
	v_add_nc_u32_e32 v13, 1, v30
	s_mov_b32 s4, exec_lo
	v_cmpx_lt_i32_e64 v13, v9
	s_cbranch_execz .LBB20_14
; %bb.48:                               ;   in Loop: Header=BB20_16 Depth=1
	v_mul_lo_u32 v18, s30, v13
	s_mov_b32 s39, 0
	s_branch .LBB20_51
.LBB20_49:                              ;   in Loop: Header=BB20_51 Depth=2
	s_or_b32 exec_lo, exec_lo, s40
.LBB20_50:                              ;   in Loop: Header=BB20_51 Depth=2
	v_add_nc_u32_e32 v13, 1, v13
	v_add_nc_u32_e32 v18, s30, v18
	v_cmp_ge_i32_e32 vcc_lo, v13, v9
	s_or_b32 s39, vcc_lo, s39
	s_andn2_b32 exec_lo, exec_lo, s39
	s_cbranch_execz .LBB20_14
.LBB20_51:                              ;   Parent Loop BB20_16 Depth=1
                                        ; =>  This Loop Header: Depth=2
                                        ;       Child Loop BB20_56 Depth 3
                                        ;       Child Loop BB20_63 Depth 3
                                        ;         Child Loop BB20_65 Depth 4
                                        ;           Child Loop BB20_67 Depth 5
	v_ashrrev_i32_e32 v14, 31, v13
	v_lshlrev_b64 v[14:15], 2, v[13:14]
	v_add_co_u32 v14, vcc_lo, s10, v14
	v_add_co_ci_u32_e64 v15, null, s11, v15, vcc_lo
	s_waitcnt lgkmcnt(0)
	global_load_dword v5, v[14:15], off
	v_mov_b32_e32 v15, s27
	s_and_saveexec_b32 s40, s2
	s_cbranch_execz .LBB20_53
; %bb.52:                               ;   in Loop: Header=BB20_51 Depth=2
	global_load_dword v14, v[11:12], off
	s_waitcnt vmcnt(0)
	v_subrev_nc_u32_e32 v15, s24, v14
.LBB20_53:                              ;   in Loop: Header=BB20_51 Depth=2
	s_or_b32 exec_lo, exec_lo, s40
	s_waitcnt vmcnt(0)
	v_subrev_nc_u32_e32 v5, s24, v5
	v_mov_b32_e32 v16, v10
	s_mov_b32 s40, exec_lo
	v_cmpx_lt_i32_e64 v15, v5
	s_cbranch_execz .LBB20_59
; %bb.54:                               ;   in Loop: Header=BB20_51 Depth=2
	v_mov_b32_e32 v14, v10
	s_mov_b32 s41, 0
	s_branch .LBB20_56
	.p2align	6
.LBB20_55:                              ;   in Loop: Header=BB20_56 Depth=3
	s_or_b32 exec_lo, exec_lo, s42
	v_cmp_ge_i32_e32 vcc_lo, v15, v5
	v_mov_b32_e32 v14, v16
	s_or_b32 s41, vcc_lo, s41
	s_andn2_b32 exec_lo, exec_lo, s41
	s_cbranch_execz .LBB20_58
.LBB20_56:                              ;   Parent Loop BB20_16 Depth=1
                                        ;     Parent Loop BB20_51 Depth=2
                                        ; =>    This Inner Loop Header: Depth=3
	v_add_nc_u32_e32 v16, 64, v14
	v_mov_b32_e32 v15, s27
	s_mov_b32 s42, exec_lo
	v_cmpx_lt_i32_e64 v16, v24
	s_cbranch_execz .LBB20_55
; %bb.57:                               ;   in Loop: Header=BB20_56 Depth=3
	v_ashrrev_i32_e32 v15, 31, v14
	v_lshlrev_b64 v[14:15], 2, v[14:15]
	v_add_co_u32 v14, vcc_lo, s10, v14
	v_add_co_ci_u32_e64 v15, null, s11, v15, vcc_lo
	global_load_dword v14, v[14:15], off offset:256
	s_waitcnt vmcnt(0)
	v_subrev_nc_u32_e32 v15, s24, v14
	s_branch .LBB20_55
.LBB20_58:                              ;   in Loop: Header=BB20_51 Depth=2
	s_or_b32 exec_lo, exec_lo, s41
.LBB20_59:                              ;   in Loop: Header=BB20_51 Depth=2
	s_or_b32 exec_lo, exec_lo, s40
	v_cmp_eq_u32_e32 vcc_lo, v15, v5
	s_cbranch_vccz .LBB20_50
; %bb.60:                               ;   in Loop: Header=BB20_51 Depth=2
	s_ff1_i32_b32 s40, vcc_lo
	s_lshl_b32 s40, s40, 2
	v_mov_b32_e32 v5, s40
	ds_bpermute_b32 v5, v5, v16
	s_and_saveexec_b32 s40, s0
	s_cbranch_execz .LBB20_49
; %bb.61:                               ;   in Loop: Header=BB20_51 Depth=2
	v_mul_lo_u32 v19, v13, s18
	s_waitcnt lgkmcnt(0)
	v_mul_lo_u32 v20, v5, s18
	v_mov_b32_e32 v21, v27
	v_mov_b32_e32 v5, v0
	s_mov_b32 s41, 0
	s_branch .LBB20_63
.LBB20_62:                              ;   in Loop: Header=BB20_63 Depth=3
	v_add_nc_u32_e32 v5, 64, v5
	v_add_nc_u32_e32 v21, s33, v21
	v_cmp_le_i32_e32 vcc_lo, s18, v5
	s_or_b32 s41, vcc_lo, s41
	s_andn2_b32 exec_lo, exec_lo, s41
	s_cbranch_execz .LBB20_49
.LBB20_63:                              ;   Parent Loop BB20_16 Depth=1
                                        ;     Parent Loop BB20_51 Depth=2
                                        ; =>    This Loop Header: Depth=3
                                        ;         Child Loop BB20_65 Depth 4
                                        ;           Child Loop BB20_67 Depth 5
	v_add_nc_u32_e32 v14, v5, v20
	v_mov_b32_e32 v23, v18
	s_mov_b32 s42, 0
	v_mul_lo_u32 v22, v14, s18
	s_branch .LBB20_65
.LBB20_64:                              ;   in Loop: Header=BB20_65 Depth=4
	v_ashrrev_i32_e32 v15, 31, v14
	v_add_nc_u32_e32 v23, 1, v23
	s_add_i32 s42, s42, 1
	s_cmp_eq_u32 s42, s18
	v_lshlrev_b64 v[14:15], 3, v[14:15]
	v_add_co_u32 v14, vcc_lo, s12, v14
	v_add_co_ci_u32_e64 v15, null, s13, v15, vcc_lo
	global_load_dwordx2 v[16:17], v[14:15], off
	s_waitcnt vmcnt(0)
	v_sub_f32_e32 v16, v16, v30
	v_sub_f32_e32 v17, v17, v31
	global_store_dwordx2 v[14:15], v[16:17], off
	s_cbranch_scc1 .LBB20_62
.LBB20_65:                              ;   Parent Loop BB20_16 Depth=1
                                        ;     Parent Loop BB20_51 Depth=2
                                        ;       Parent Loop BB20_63 Depth=3
                                        ; =>      This Loop Header: Depth=4
                                        ;           Child Loop BB20_67 Depth 5
	v_add_nc_u32_e32 v14, s42, v19
	v_mov_b32_e32 v30, 0
	v_mov_b32_e32 v33, v23
	v_mov_b32_e32 v31, 0
	s_mov_b32 s43, 0
	v_mul_lo_u32 v32, v14, s18
	s_inst_prefetch 0x1
	s_branch .LBB20_67
	.p2align	6
.LBB20_66:                              ;   in Loop: Header=BB20_67 Depth=5
	v_ashrrev_i32_e32 v17, 31, v16
	v_add_nc_u32_e32 v33, s18, v33
	s_add_i32 s43, s43, 1
	s_cmp_eq_u32 s18, s43
	v_lshlrev_b64 v[16:17], 3, v[16:17]
	v_add_co_u32 v16, vcc_lo, s12, v16
	v_add_co_ci_u32_e64 v17, null, s13, v17, vcc_lo
	global_load_dwordx2 v[16:17], v[16:17], off
	s_waitcnt vmcnt(0)
	v_fmac_f32_e32 v30, v14, v16
	v_fmac_f32_e32 v31, v15, v16
	v_fma_f32 v30, -v15, v17, v30
	v_fmac_f32_e32 v31, v14, v17
	s_cbranch_scc1 .LBB20_73
.LBB20_67:                              ;   Parent Loop BB20_16 Depth=1
                                        ;     Parent Loop BB20_51 Depth=2
                                        ;       Parent Loop BB20_63 Depth=3
                                        ;         Parent Loop BB20_65 Depth=4
                                        ; =>        This Inner Loop Header: Depth=5
	s_and_b32 vcc_lo, exec_lo, s23
	s_cbranch_vccz .LBB20_72
; %bb.68:                               ;   in Loop: Header=BB20_67 Depth=5
	v_add_nc_u32_e32 v14, s43, v29
	v_mad_u64_u32 v[14:15], null, v14, s18, v[5:6]
	s_cbranch_execnz .LBB20_70
.LBB20_69:                              ;   in Loop: Header=BB20_67 Depth=5
	v_add_nc_u32_e32 v14, s43, v21
.LBB20_70:                              ;   in Loop: Header=BB20_67 Depth=5
	v_ashrrev_i32_e32 v15, 31, v14
	v_mov_b32_e32 v16, v33
	v_lshlrev_b64 v[14:15], 3, v[14:15]
	v_add_co_u32 v14, vcc_lo, s12, v14
	v_add_co_ci_u32_e64 v15, null, s13, v15, vcc_lo
	s_andn2_b32 vcc_lo, exec_lo, s23
	global_load_dwordx2 v[14:15], v[14:15], off
	s_cbranch_vccnz .LBB20_66
; %bb.71:                               ;   in Loop: Header=BB20_67 Depth=5
	v_add_nc_u32_e32 v16, s43, v32
	s_branch .LBB20_66
.LBB20_72:                              ;   in Loop: Header=BB20_67 Depth=5
                                        ; implicit-def: $vgpr14
	s_branch .LBB20_69
.LBB20_73:                              ;   in Loop: Header=BB20_65 Depth=4
	s_inst_prefetch 0x2
	s_and_b32 vcc_lo, exec_lo, s23
	s_cbranch_vccz .LBB20_75
; %bb.74:                               ;   in Loop: Header=BB20_65 Depth=4
	v_add_nc_u32_e32 v14, s42, v20
	v_mad_u64_u32 v[14:15], null, v14, s18, v[5:6]
	s_cbranch_execnz .LBB20_64
	s_branch .LBB20_76
.LBB20_75:                              ;   in Loop: Header=BB20_65 Depth=4
                                        ; implicit-def: $vgpr14
.LBB20_76:                              ;   in Loop: Header=BB20_65 Depth=4
	v_add_nc_u32_e32 v14, s42, v22
	s_branch .LBB20_64
.LBB20_77:
	s_or_b32 exec_lo, exec_lo, s35
	s_and_b32 s3, s36, exec_lo
.LBB20_78:
	s_or_b32 exec_lo, exec_lo, s5
	s_waitcnt lgkmcnt(0)
	v_ashrrev_i32_e32 v5, 31, v4
	s_cmp_gt_i32 s18, 0
	s_mov_b32 s8, 0
	s_cselect_b32 s4, -1, 0
	v_lshlrev_b64 v[8:9], 2, v[4:5]
	v_add_co_u32 v8, vcc_lo, s10, v8
	v_add_co_ci_u32_e64 v9, null, s11, v9, vcc_lo
	global_load_dword v5, v[8:9], off
	s_waitcnt vmcnt(0)
	v_subrev_nc_u32_e32 v5, s24, v5
	v_cmp_eq_u32_e32 vcc_lo, v5, v1
	s_and_b32 s0, s4, vcc_lo
	s_and_saveexec_b32 s5, s0
	s_cbranch_execz .LBB20_118
; %bb.79:
	v_cvt_f64_f32_e32 v[11:12], v26
	v_mul_lo_u32 v21, v4, s18
	s_cmp_eq_u64 s[16:17], 8
	s_mul_i32 s1, s18, s18
	s_cselect_b32 vcc_lo, -1, 0
	s_cmp_lg_u32 s26, 0
	v_mad_u64_u32 v[8:9], null, v4, s1, 1
	s_cselect_b32 s9, -1, 0
	v_add_nc_u32_e32 v5, v21, v0
	s_add_i32 s2, s18, 1
	v_cmp_eq_u32_e64 s0, 0, v0
	s_lshl_b32 s10, s18, 6
	s_add_i32 s11, s18, -1
	v_mad_u64_u32 v[9:10], null, s18, v5, s[2:3]
	v_mov_b32_e32 v5, 0
	s_mov_b32 s15, s3
                                        ; implicit-def: $sgpr14
	v_cndmask_b32_e32 v7, v12, v7, vcc_lo
	v_cndmask_b32_e32 v6, v11, v6, vcc_lo
	s_branch .LBB20_81
.LBB20_80:                              ;   in Loop: Header=BB20_81 Depth=1
	s_or_b32 exec_lo, exec_lo, s1
	v_cmp_eq_u32_e32 vcc_lo, s18, v23
	s_add_i32 s11, s11, -1
	v_add_nc_u32_e32 v8, s2, v8
	v_add_nc_u32_e32 v9, s2, v9
	v_mov_b32_e32 v5, v23
	s_or_b32 s8, vcc_lo, s8
	s_andn2_b32 s1, s14, exec_lo
	s_and_b32 s14, s15, exec_lo
	s_or_b32 s14, s1, s14
	s_andn2_b32 exec_lo, exec_lo, s8
	s_cbranch_execz .LBB20_117
.LBB20_81:                              ; =>This Loop Header: Depth=1
                                        ;     Child Loop BB20_97 Depth 2
                                        ;       Child Loop BB20_106 Depth 3
	v_add_nc_u32_e32 v10, v5, v21
	s_mov_b32 s16, 0
	s_mov_b32 s17, 0
	s_mov_b32 s1, -1
                                        ; implicit-def: $vgpr14
	v_mul_lo_u32 v22, v10, s18
	v_add_nc_u32_e32 v10, v22, v5
	v_ashrrev_i32_e32 v11, 31, v10
	v_lshlrev_b64 v[10:11], 3, v[10:11]
	v_add_co_u32 v12, vcc_lo, s12, v10
	v_add_co_ci_u32_e64 v13, null, s13, v11, vcc_lo
	v_cmp_ne_u32_e32 vcc_lo, 1, v25
	global_load_dwordx2 v[10:11], v[12:13], off
	s_cbranch_vccnz .LBB20_91
; %bb.82:                               ;   in Loop: Header=BB20_81 Depth=1
	s_waitcnt vmcnt(0)
	v_cmp_gt_f32_e32 vcc_lo, 0, v10
                                        ; implicit-def: $vgpr16
	s_mov_b32 s1, exec_lo
	v_cndmask_b32_e64 v14, v10, -v10, vcc_lo
	v_cmp_gt_f32_e32 vcc_lo, 0, v11
	v_cndmask_b32_e64 v15, v11, -v11, vcc_lo
	v_cmpx_ngt_f32_e32 v14, v15
	s_xor_b32 s17, exec_lo, s1
	s_cbranch_execz .LBB20_86
; %bb.83:                               ;   in Loop: Header=BB20_81 Depth=1
	v_mov_b32_e32 v16, 0
	s_mov_b32 s22, exec_lo
	v_cmpx_neq_f32_e32 0, v11
	s_cbranch_execz .LBB20_85
; %bb.84:                               ;   in Loop: Header=BB20_81 Depth=1
	v_div_scale_f32 v16, null, v15, v15, v14
	v_div_scale_f32 v19, vcc_lo, v14, v15, v14
	v_rcp_f32_e32 v17, v16
	v_fma_f32 v18, -v16, v17, 1.0
	v_fmac_f32_e32 v17, v18, v17
	v_mul_f32_e32 v18, v19, v17
	v_fma_f32 v20, -v16, v18, v19
	v_fmac_f32_e32 v18, v20, v17
	v_fma_f32 v16, -v16, v18, v19
	v_div_fmas_f32 v16, v16, v17, v18
	v_div_fixup_f32 v14, v16, v15, v14
	v_fma_f32 v14, v14, v14, 1.0
	v_mul_f32_e32 v16, 0x4f800000, v14
	v_cmp_gt_f32_e32 vcc_lo, 0xf800000, v14
	v_cndmask_b32_e32 v14, v14, v16, vcc_lo
	v_sqrt_f32_e32 v16, v14
	v_add_nc_u32_e32 v17, -1, v16
	v_add_nc_u32_e32 v18, 1, v16
	v_fma_f32 v19, -v17, v16, v14
	v_fma_f32 v20, -v18, v16, v14
	v_cmp_ge_f32_e64 s1, 0, v19
	v_cndmask_b32_e64 v16, v16, v17, s1
	v_cmp_lt_f32_e64 s1, 0, v20
	v_cndmask_b32_e64 v16, v16, v18, s1
	v_mul_f32_e32 v17, 0x37800000, v16
	v_cndmask_b32_e32 v16, v16, v17, vcc_lo
	v_cmp_class_f32_e64 vcc_lo, v14, 0x260
	v_cndmask_b32_e32 v14, v16, v14, vcc_lo
	v_mul_f32_e32 v16, v15, v14
.LBB20_85:                              ;   in Loop: Header=BB20_81 Depth=1
	s_or_b32 exec_lo, exec_lo, s22
                                        ; implicit-def: $vgpr14
                                        ; implicit-def: $vgpr15
.LBB20_86:                              ;   in Loop: Header=BB20_81 Depth=1
	s_andn2_saveexec_b32 s17, s17
	s_cbranch_execz .LBB20_88
; %bb.87:                               ;   in Loop: Header=BB20_81 Depth=1
	v_div_scale_f32 v16, null, v14, v14, v15
	v_div_scale_f32 v19, vcc_lo, v15, v14, v15
	v_rcp_f32_e32 v17, v16
	v_fma_f32 v18, -v16, v17, 1.0
	v_fmac_f32_e32 v17, v18, v17
	v_mul_f32_e32 v18, v19, v17
	v_fma_f32 v20, -v16, v18, v19
	v_fmac_f32_e32 v18, v20, v17
	v_fma_f32 v16, -v16, v18, v19
	v_div_fmas_f32 v16, v16, v17, v18
	v_div_fixup_f32 v15, v16, v14, v15
	v_fma_f32 v15, v15, v15, 1.0
	v_mul_f32_e32 v16, 0x4f800000, v15
	v_cmp_gt_f32_e32 vcc_lo, 0xf800000, v15
	v_cndmask_b32_e32 v15, v15, v16, vcc_lo
	v_sqrt_f32_e32 v16, v15
	v_add_nc_u32_e32 v17, -1, v16
	v_add_nc_u32_e32 v18, 1, v16
	v_fma_f32 v19, -v17, v16, v15
	v_fma_f32 v20, -v18, v16, v15
	v_cmp_ge_f32_e64 s1, 0, v19
	v_cndmask_b32_e64 v16, v16, v17, s1
	v_cmp_lt_f32_e64 s1, 0, v20
	v_cndmask_b32_e64 v16, v16, v18, s1
	v_mul_f32_e32 v17, 0x37800000, v16
	v_cndmask_b32_e32 v16, v16, v17, vcc_lo
	v_cmp_class_f32_e64 vcc_lo, v15, 0x260
	v_cndmask_b32_e32 v15, v16, v15, vcc_lo
	v_mul_f32_e32 v16, v14, v15
.LBB20_88:                              ;   in Loop: Header=BB20_81 Depth=1
	s_or_b32 exec_lo, exec_lo, s17
	v_cvt_f64_f32_e32 v[14:15], v16
	v_cmp_ge_f64_e32 vcc_lo, v[6:7], v[14:15]
	v_cndmask_b32_e64 v15, v11, s28, vcc_lo
	v_cndmask_b32_e64 v14, v10, s25, vcc_lo
	s_and_saveexec_b32 s1, s0
	s_cbranch_execz .LBB20_90
; %bb.89:                               ;   in Loop: Header=BB20_81 Depth=1
	global_store_dwordx2 v[12:13], v[14:15], off
.LBB20_90:                              ;   in Loop: Header=BB20_81 Depth=1
	s_or_b32 exec_lo, exec_lo, s1
	s_mov_b32 s1, 0
	s_mov_b32 s17, -1
.LBB20_91:                              ;   in Loop: Header=BB20_81 Depth=1
	s_and_b32 vcc_lo, exec_lo, s1
	s_cbranch_vccz .LBB20_93
; %bb.92:                               ;   in Loop: Header=BB20_81 Depth=1
	s_waitcnt vmcnt(0)
	v_cmp_neq_f32_e32 vcc_lo, 0, v10
	v_cmp_neq_f32_e64 s1, 0, v11
	s_andn2_b32 s17, s17, exec_lo
	s_mov_b32 s16, -1
	s_or_b32 s1, vcc_lo, s1
	s_and_b32 s1, s1, exec_lo
	s_or_b32 s17, s17, s1
                                        ; implicit-def: $vgpr23
	s_and_saveexec_b32 s1, s17
	s_xor_b32 s17, exec_lo, s1
	s_cbranch_execnz .LBB20_94
	s_branch .LBB20_115
.LBB20_93:                              ;   in Loop: Header=BB20_81 Depth=1
	s_waitcnt vmcnt(0)
	v_mov_b32_e32 v10, v14
	v_mov_b32_e32 v11, v15
                                        ; implicit-def: $vgpr23
	s_and_saveexec_b32 s1, s17
	s_xor_b32 s17, exec_lo, s1
	s_cbranch_execz .LBB20_115
.LBB20_94:                              ;   in Loop: Header=BB20_81 Depth=1
	v_add_nc_u32_e32 v23, 1, v5
	s_mov_b32 s22, exec_lo
	v_add_nc_u32_e32 v12, v23, v0
	v_cmpx_gt_i32_e64 s18, v12
	s_cbranch_execz .LBB20_114
; %bb.95:                               ;   in Loop: Header=BB20_81 Depth=1
	v_mul_f32_e32 v13, v11, v11
	v_cmp_gt_i32_e64 s1, s18, v23
	v_mov_b32_e32 v27, v9
	s_mov_b32 s23, 0
	v_fmac_f32_e32 v13, v10, v10
	v_div_scale_f32 v14, null, v13, v13, 1.0
	v_div_scale_f32 v17, vcc_lo, 1.0, v13, 1.0
	v_rcp_f32_e32 v15, v14
	v_fma_f32 v16, -v14, v15, 1.0
	v_fmac_f32_e32 v15, v16, v15
	v_mul_f32_e32 v16, v17, v15
	v_fma_f32 v18, -v14, v16, v17
	v_fmac_f32_e32 v16, v18, v15
	v_fma_f32 v14, -v14, v16, v17
	v_div_fmas_f32 v14, v14, v15, v16
	v_div_fixup_f32 v26, v14, v13, 1.0
	s_branch .LBB20_97
.LBB20_96:                              ;   in Loop: Header=BB20_97 Depth=2
	s_or_b32 exec_lo, exec_lo, s27
	v_add_nc_u32_e32 v12, 64, v12
	v_add_nc_u32_e32 v27, s10, v27
	v_cmp_le_i32_e32 vcc_lo, s18, v12
	s_or_b32 s23, vcc_lo, s23
	s_andn2_b32 exec_lo, exec_lo, s23
	s_cbranch_execz .LBB20_114
.LBB20_97:                              ;   Parent Loop BB20_81 Depth=1
                                        ; =>  This Loop Header: Depth=2
                                        ;       Child Loop BB20_106 Depth 3
	v_add_nc_u32_e32 v13, v12, v22
	s_and_b32 vcc_lo, exec_lo, s9
	s_cbranch_vccz .LBB20_112
; %bb.98:                               ;   in Loop: Header=BB20_97 Depth=2
	v_add_nc_u32_e32 v14, v12, v22
	s_cbranch_execnz .LBB20_100
.LBB20_99:                              ;   in Loop: Header=BB20_97 Depth=2
	v_add_nc_u32_e32 v14, v12, v21
	v_mad_u64_u32 v[14:15], null, v14, s18, v[5:6]
.LBB20_100:                             ;   in Loop: Header=BB20_97 Depth=2
	v_ashrrev_i32_e32 v15, 31, v14
	v_lshlrev_b64 v[14:15], 3, v[14:15]
	v_add_co_u32 v14, vcc_lo, s12, v14
	v_add_co_ci_u32_e64 v15, null, s13, v15, vcc_lo
	s_and_b32 vcc_lo, exec_lo, s9
	global_load_dwordx2 v[15:16], v[14:15], off
	s_cbranch_vccz .LBB20_113
; %bb.101:                              ;   in Loop: Header=BB20_97 Depth=2
	s_cbranch_execnz .LBB20_103
.LBB20_102:                             ;   in Loop: Header=BB20_97 Depth=2
	v_add_nc_u32_e32 v13, v12, v21
	v_mad_u64_u32 v[13:14], null, v13, s18, v[5:6]
.LBB20_103:                             ;   in Loop: Header=BB20_97 Depth=2
	s_waitcnt vmcnt(0)
	v_mul_f32_e32 v17, v11, v16
	v_mul_f32_e64 v18, v11, -v15
	v_ashrrev_i32_e32 v14, 31, v13
	v_fmac_f32_e32 v17, v15, v10
	v_fmac_f32_e32 v18, v16, v10
	v_lshlrev_b64 v[15:16], 3, v[13:14]
	v_mul_f32_e32 v13, v26, v17
	v_mul_f32_e32 v14, v26, v18
	v_add_co_u32 v15, vcc_lo, s12, v15
	v_add_co_ci_u32_e64 v16, null, s13, v16, vcc_lo
	global_store_dwordx2 v[15:16], v[13:14], off
	s_and_saveexec_b32 s27, s1
	s_cbranch_execz .LBB20_96
; %bb.104:                              ;   in Loop: Header=BB20_97 Depth=2
	v_mov_b32_e32 v28, v27
	v_mov_b32_e32 v29, v8
	;; [unrolled: 1-line block ×3, first 2 shown]
	s_mov_b32 s29, s11
	s_branch .LBB20_106
.LBB20_105:                             ;   in Loop: Header=BB20_106 Depth=3
	v_ashrrev_i32_e32 v20, 31, v19
	s_waitcnt vmcnt(0)
	v_fma_f32 v17, -v13, v15, v17
	v_fma_f32 v15, -v14, v15, v18
	v_add_nc_u32_e32 v30, 1, v30
	v_add_nc_u32_e32 v29, 1, v29
	v_lshlrev_b64 v[19:20], 3, v[19:20]
	v_fmac_f32_e32 v17, v14, v16
	v_fma_f32 v18, -v13, v16, v15
	v_add_nc_u32_e32 v28, 1, v28
	s_add_i32 s29, s29, -1
	s_cmp_eq_u32 s29, 0
	v_add_co_u32 v15, vcc_lo, s12, v19
	v_add_co_ci_u32_e64 v16, null, s13, v20, vcc_lo
	global_store_dwordx2 v[15:16], v[17:18], off
	s_cbranch_scc1 .LBB20_96
.LBB20_106:                             ;   Parent Loop BB20_81 Depth=1
                                        ;     Parent Loop BB20_97 Depth=2
                                        ; =>    This Inner Loop Header: Depth=3
	v_add_nc_u32_e32 v20, v30, v21
	v_mov_b32_e32 v15, v29
	s_andn2_b32 vcc_lo, exec_lo, s9
	s_cbranch_vccnz .LBB20_108
; %bb.107:                              ;   in Loop: Header=BB20_106 Depth=3
	v_mad_u64_u32 v[15:16], null, v20, s18, v[5:6]
.LBB20_108:                             ;   in Loop: Header=BB20_106 Depth=3
	v_ashrrev_i32_e32 v16, 31, v15
	v_mov_b32_e32 v17, v28
	v_lshlrev_b64 v[15:16], 3, v[15:16]
	v_add_co_u32 v15, vcc_lo, s12, v15
	v_add_co_ci_u32_e64 v16, null, s13, v16, vcc_lo
	s_andn2_b32 vcc_lo, exec_lo, s9
	global_load_dwordx2 v[15:16], v[15:16], off
	s_cbranch_vccnz .LBB20_110
; %bb.109:                              ;   in Loop: Header=BB20_106 Depth=3
	v_mad_u64_u32 v[17:18], null, v20, s18, v[12:13]
.LBB20_110:                             ;   in Loop: Header=BB20_106 Depth=3
	v_ashrrev_i32_e32 v18, 31, v17
	v_mov_b32_e32 v19, v28
	v_lshlrev_b64 v[17:18], 3, v[17:18]
	v_add_co_u32 v17, vcc_lo, s12, v17
	v_add_co_ci_u32_e64 v18, null, s13, v18, vcc_lo
	s_andn2_b32 vcc_lo, exec_lo, s9
	global_load_dwordx2 v[17:18], v[17:18], off
	s_cbranch_vccnz .LBB20_105
; %bb.111:                              ;   in Loop: Header=BB20_106 Depth=3
	v_mad_u64_u32 v[19:20], null, v20, s18, v[12:13]
	s_branch .LBB20_105
.LBB20_112:                             ;   in Loop: Header=BB20_97 Depth=2
                                        ; implicit-def: $vgpr14
	s_branch .LBB20_99
.LBB20_113:                             ;   in Loop: Header=BB20_97 Depth=2
                                        ; implicit-def: $vgpr13
	s_branch .LBB20_102
.LBB20_114:                             ;   in Loop: Header=BB20_81 Depth=1
	s_or_b32 exec_lo, exec_lo, s22
	s_andn2_b32 s16, s16, exec_lo
.LBB20_115:                             ;   in Loop: Header=BB20_81 Depth=1
	s_or_b32 exec_lo, exec_lo, s17
	s_andn2_b32 s1, s15, exec_lo
	s_and_b32 s15, s15, exec_lo
	s_or_b32 s15, s1, s15
	s_and_saveexec_b32 s1, s16
	s_cbranch_execz .LBB20_80
; %bb.116:                              ;   in Loop: Header=BB20_81 Depth=1
	v_add_nc_u32_e32 v23, 1, v5
	s_or_b32 s15, s15, exec_lo
	s_branch .LBB20_80
.LBB20_117:
	s_or_b32 exec_lo, exec_lo, s8
	s_andn2_b32 s0, s3, exec_lo
	s_and_b32 s1, s14, exec_lo
	s_or_b32 s3, s0, s1
.LBB20_118:
	s_or_b32 exec_lo, exec_lo, s5
	v_add_nc_u32_e32 v13, 1, v4
	s_mov_b32 s1, exec_lo
	v_cmpx_lt_i32_e64 v13, v24
	s_cbranch_execz .LBB20_142
; %bb.119:
	v_mul_lo_u32 v14, v4, s18
	s_mul_i32 s2, s18, s18
	v_cmp_gt_i32_e64 s0, s18, v0
	v_mul_lo_u32 v6, s2, v13
	s_cmp_lg_u32 s26, 0
	s_mov_b32 s5, 0
	s_cselect_b32 s8, -1, 0
	s_add_i32 s9, s18, 1
	v_mad_u64_u32 v[4:5], null, s18, v14, s[18:19]
	s_add_i32 s10, s18, -1
	v_add3_u32 v15, v6, s18, v0
	s_branch .LBB20_121
.LBB20_120:                             ;   in Loop: Header=BB20_121 Depth=1
	v_add_nc_u32_e32 v13, 1, v13
	v_add_nc_u32_e32 v15, s2, v15
	v_cmp_ge_i32_e32 vcc_lo, v13, v24
	s_or_b32 s5, vcc_lo, s5
	s_andn2_b32 exec_lo, exec_lo, s5
	s_cbranch_execz .LBB20_142
.LBB20_121:                             ; =>This Loop Header: Depth=1
                                        ;     Child Loop BB20_124 Depth 2
                                        ;       Child Loop BB20_127 Depth 3
                                        ;         Child Loop BB20_130 Depth 4
	s_andn2_b32 vcc_lo, exec_lo, s4
	s_cbranch_vccnz .LBB20_120
; %bb.122:                              ;   in Loop: Header=BB20_121 Depth=1
	v_mul_lo_u32 v16, v13, s18
	v_mov_b32_e32 v17, v15
	v_mov_b32_e32 v18, v4
	s_mov_b32 s14, 0
	s_mov_b32 s11, s10
	s_branch .LBB20_124
.LBB20_123:                             ;   in Loop: Header=BB20_124 Depth=2
	s_or_b32 exec_lo, exec_lo, s16
	v_add_nc_u32_e32 v18, s9, v18
	v_add_nc_u32_e32 v17, s18, v17
	s_add_i32 s11, s11, -1
	s_cmp_eq_u32 s15, s18
	s_mov_b32 s14, s15
	s_cbranch_scc1 .LBB20_120
.LBB20_124:                             ;   Parent Loop BB20_121 Depth=1
                                        ; =>  This Loop Header: Depth=2
                                        ;       Child Loop BB20_127 Depth 3
                                        ;         Child Loop BB20_130 Depth 4
	s_add_i32 s15, s14, 1
	s_and_saveexec_b32 s16, s0
	s_cbranch_execz .LBB20_123
; %bb.125:                              ;   in Loop: Header=BB20_124 Depth=2
	v_add_nc_u32_e32 v5, s14, v14
	v_add_nc_u32_e32 v6, s14, v16
	v_mov_b32_e32 v21, v17
	v_mov_b32_e32 v22, v0
	s_cmp_lt_i32 s15, s18
	v_mul_lo_u32 v19, v5, s18
	v_mul_lo_u32 v20, v6, s18
	s_cselect_b32 s17, -1, 0
	s_mov_b32 s22, 0
	s_branch .LBB20_127
.LBB20_126:                             ;   in Loop: Header=BB20_127 Depth=3
	v_add_nc_u32_e32 v22, 64, v22
	v_add_nc_u32_e32 v21, 64, v21
	v_cmp_le_i32_e32 vcc_lo, s18, v22
	s_or_b32 s22, vcc_lo, s22
	s_andn2_b32 exec_lo, exec_lo, s22
	s_cbranch_execz .LBB20_123
.LBB20_127:                             ;   Parent Loop BB20_121 Depth=1
                                        ;     Parent Loop BB20_124 Depth=2
                                        ; =>    This Loop Header: Depth=3
                                        ;         Child Loop BB20_130 Depth 4
	s_andn2_b32 vcc_lo, exec_lo, s17
	s_cbranch_vccnz .LBB20_126
; %bb.128:                              ;   in Loop: Header=BB20_127 Depth=3
	v_add_nc_u32_e32 v5, v22, v16
	v_add_nc_u32_e32 v26, v22, v20
	s_mov_b32 s23, 0
	s_mov_b32 s25, s11
	;; [unrolled: 1-line block ×3, first 2 shown]
	v_mul_lo_u32 v23, v5, s18
	v_add_nc_u32_e32 v25, s14, v23
	s_branch .LBB20_130
.LBB20_129:                             ;   in Loop: Header=BB20_130 Depth=4
	v_ashrrev_i32_e32 v10, 31, v9
	s_waitcnt vmcnt(0)
	v_fma_f32 v11, -v5, v7, v11
	v_fma_f32 v7, -v6, v7, v12
	s_add_i32 s25, s25, -1
	s_add_i32 s26, s26, 1
	v_lshlrev_b64 v[9:10], 3, v[9:10]
	v_fmac_f32_e32 v11, v6, v8
	v_fma_f32 v12, -v5, v8, v7
	s_add_i32 s23, s23, s18
	s_cmp_eq_u32 s25, 0
	v_add_co_u32 v5, vcc_lo, s12, v9
	v_add_co_ci_u32_e64 v6, null, s13, v10, vcc_lo
	global_store_dwordx2 v[5:6], v[11:12], off
	s_cbranch_scc1 .LBB20_126
.LBB20_130:                             ;   Parent Loop BB20_121 Depth=1
                                        ;     Parent Loop BB20_124 Depth=2
                                        ;       Parent Loop BB20_127 Depth=3
                                        ; =>      This Inner Loop Header: Depth=4
	s_and_b32 vcc_lo, exec_lo, s8
	s_cbranch_vccz .LBB20_138
; %bb.131:                              ;   in Loop: Header=BB20_130 Depth=4
	v_add_nc_u32_e32 v5, s26, v19
	v_mov_b32_e32 v7, v25
	s_cbranch_execnz .LBB20_133
.LBB20_132:                             ;   in Loop: Header=BB20_130 Depth=4
	v_add_nc_u32_e32 v5, s23, v18
	v_mov_b32_e32 v7, v26
.LBB20_133:                             ;   in Loop: Header=BB20_130 Depth=4
	v_ashrrev_i32_e32 v6, 31, v5
	v_ashrrev_i32_e32 v8, 31, v7
	v_add_nc_u32_e32 v9, s26, v23
	v_lshlrev_b64 v[5:6], 3, v[5:6]
	v_lshlrev_b64 v[7:8], 3, v[7:8]
	v_add_co_u32 v5, vcc_lo, s12, v5
	v_add_co_ci_u32_e64 v6, null, s13, v6, vcc_lo
	v_add_co_u32 v7, vcc_lo, s12, v7
	v_add_co_ci_u32_e64 v8, null, s13, v8, vcc_lo
	s_clause 0x1
	global_load_dwordx2 v[5:6], v[5:6], off
	global_load_dwordx2 v[7:8], v[7:8], off
	s_and_b32 vcc_lo, exec_lo, s8
	s_cbranch_vccz .LBB20_139
; %bb.134:                              ;   in Loop: Header=BB20_130 Depth=4
	v_add_nc_u32_e32 v10, s26, v23
	v_add_nc_u32_e32 v27, s23, v21
	s_cbranch_execnz .LBB20_136
.LBB20_135:                             ;   in Loop: Header=BB20_130 Depth=4
	v_add_nc_u32_e32 v10, s23, v21
.LBB20_136:                             ;   in Loop: Header=BB20_130 Depth=4
	v_ashrrev_i32_e32 v11, 31, v10
	v_lshlrev_b64 v[10:11], 3, v[10:11]
	v_add_co_u32 v10, vcc_lo, s12, v10
	v_add_co_ci_u32_e64 v11, null, s13, v11, vcc_lo
	s_and_b32 vcc_lo, exec_lo, s8
	global_load_dwordx2 v[11:12], v[10:11], off
	s_cbranch_vccz .LBB20_140
; %bb.137:                              ;   in Loop: Header=BB20_130 Depth=4
	s_cbranch_execnz .LBB20_129
	s_branch .LBB20_141
.LBB20_138:                             ;   in Loop: Header=BB20_130 Depth=4
                                        ; implicit-def: $vgpr5
	v_mov_b32_e32 v7, v25
	s_branch .LBB20_132
.LBB20_139:                             ;   in Loop: Header=BB20_130 Depth=4
                                        ; implicit-def: $vgpr10
	v_add_nc_u32_e32 v27, s23, v21
	s_branch .LBB20_135
.LBB20_140:                             ;   in Loop: Header=BB20_130 Depth=4
                                        ; implicit-def: $vgpr9
.LBB20_141:                             ;   in Loop: Header=BB20_130 Depth=4
	v_mov_b32_e32 v9, v27
	s_branch .LBB20_129
.LBB20_142:
	s_or_b32 exec_lo, exec_lo, s1
	s_orn2_b32 s0, s3, exec_lo
.LBB20_143:
	s_or_b32 exec_lo, exec_lo, s19
	v_cmp_eq_u32_e32 vcc_lo, 0, v0
	s_and_b32 exec_lo, exec_lo, vcc_lo
	s_cbranch_execz .LBB20_149
; %bb.144:
	v_add_co_u32 v2, vcc_lo, s20, v2
	v_add_co_ci_u32_e64 v3, null, s21, v3, vcc_lo
	v_mov_b32_e32 v0, 1
	s_waitcnt_vscnt null, 0x0
	global_store_dword v[2:3], v0, off
	s_and_b32 exec_lo, exec_lo, s0
	s_cbranch_execz .LBB20_149
; %bb.145:
	v_add_nc_u32_e32 v0, s24, v1
	s_mov_b32 s1, exec_lo
	s_brev_b32 s0, -2
.LBB20_146:                             ; =>This Inner Loop Header: Depth=1
	s_ff1_i32_b32 s2, s1
	v_readlane_b32 s3, v0, s2
	s_lshl_b32 s2, 1, s2
	s_andn2_b32 s1, s1, s2
	s_min_i32 s0, s0, s3
	s_cmp_lg_u32 s1, 0
	s_cbranch_scc1 .LBB20_146
; %bb.147:
	v_mbcnt_lo_u32_b32 v0, exec_lo, 0
	s_mov_b32 s1, exec_lo
	v_cmpx_eq_u32_e32 0, v0
	s_xor_b32 s1, exec_lo, s1
	s_cbranch_execz .LBB20_149
; %bb.148:
	v_mov_b32_e32 v0, 0
	v_mov_b32_e32 v1, s0
	global_atomic_smin v0, v1, s[6:7]
.LBB20_149:
	s_endpgm
	.section	.rodata,"a",@progbits
	.p2align	6, 0x0
	.amdhsa_kernel _ZN9rocsparseL15bsrilu0_generalILj128ELj64ELb0E21rocsparse_complex_numIfEEEv20rocsparse_direction_iPKiS5_PT2_S5_iPiS5_S8_21rocsparse_index_base_imNS_24const_host_device_scalarIfEENSA_IdEENSA_IS6_EEb
		.amdhsa_group_segment_fixed_size 0
		.amdhsa_private_segment_fixed_size 0
		.amdhsa_kernarg_size 116
		.amdhsa_user_sgpr_count 6
		.amdhsa_user_sgpr_private_segment_buffer 1
		.amdhsa_user_sgpr_dispatch_ptr 0
		.amdhsa_user_sgpr_queue_ptr 0
		.amdhsa_user_sgpr_kernarg_segment_ptr 1
		.amdhsa_user_sgpr_dispatch_id 0
		.amdhsa_user_sgpr_flat_scratch_init 0
		.amdhsa_user_sgpr_private_segment_size 0
		.amdhsa_wavefront_size32 1
		.amdhsa_uses_dynamic_stack 0
		.amdhsa_system_sgpr_private_segment_wavefront_offset 0
		.amdhsa_system_sgpr_workgroup_id_x 1
		.amdhsa_system_sgpr_workgroup_id_y 0
		.amdhsa_system_sgpr_workgroup_id_z 0
		.amdhsa_system_sgpr_workgroup_info 0
		.amdhsa_system_vgpr_workitem_id 0
		.amdhsa_next_free_vgpr 41
		.amdhsa_next_free_sgpr 45
		.amdhsa_reserve_vcc 1
		.amdhsa_reserve_flat_scratch 0
		.amdhsa_float_round_mode_32 0
		.amdhsa_float_round_mode_16_64 0
		.amdhsa_float_denorm_mode_32 3
		.amdhsa_float_denorm_mode_16_64 3
		.amdhsa_dx10_clamp 1
		.amdhsa_ieee_mode 1
		.amdhsa_fp16_overflow 0
		.amdhsa_workgroup_processor_mode 1
		.amdhsa_memory_ordered 1
		.amdhsa_forward_progress 1
		.amdhsa_shared_vgpr_count 0
		.amdhsa_exception_fp_ieee_invalid_op 0
		.amdhsa_exception_fp_denorm_src 0
		.amdhsa_exception_fp_ieee_div_zero 0
		.amdhsa_exception_fp_ieee_overflow 0
		.amdhsa_exception_fp_ieee_underflow 0
		.amdhsa_exception_fp_ieee_inexact 0
		.amdhsa_exception_int_div_zero 0
	.end_amdhsa_kernel
	.section	.text._ZN9rocsparseL15bsrilu0_generalILj128ELj64ELb0E21rocsparse_complex_numIfEEEv20rocsparse_direction_iPKiS5_PT2_S5_iPiS5_S8_21rocsparse_index_base_imNS_24const_host_device_scalarIfEENSA_IdEENSA_IS6_EEb,"axG",@progbits,_ZN9rocsparseL15bsrilu0_generalILj128ELj64ELb0E21rocsparse_complex_numIfEEEv20rocsparse_direction_iPKiS5_PT2_S5_iPiS5_S8_21rocsparse_index_base_imNS_24const_host_device_scalarIfEENSA_IdEENSA_IS6_EEb,comdat
.Lfunc_end20:
	.size	_ZN9rocsparseL15bsrilu0_generalILj128ELj64ELb0E21rocsparse_complex_numIfEEEv20rocsparse_direction_iPKiS5_PT2_S5_iPiS5_S8_21rocsparse_index_base_imNS_24const_host_device_scalarIfEENSA_IdEENSA_IS6_EEb, .Lfunc_end20-_ZN9rocsparseL15bsrilu0_generalILj128ELj64ELb0E21rocsparse_complex_numIfEEEv20rocsparse_direction_iPKiS5_PT2_S5_iPiS5_S8_21rocsparse_index_base_imNS_24const_host_device_scalarIfEENSA_IdEENSA_IS6_EEb
                                        ; -- End function
	.set _ZN9rocsparseL15bsrilu0_generalILj128ELj64ELb0E21rocsparse_complex_numIfEEEv20rocsparse_direction_iPKiS5_PT2_S5_iPiS5_S8_21rocsparse_index_base_imNS_24const_host_device_scalarIfEENSA_IdEENSA_IS6_EEb.num_vgpr, 41
	.set _ZN9rocsparseL15bsrilu0_generalILj128ELj64ELb0E21rocsparse_complex_numIfEEEv20rocsparse_direction_iPKiS5_PT2_S5_iPiS5_S8_21rocsparse_index_base_imNS_24const_host_device_scalarIfEENSA_IdEENSA_IS6_EEb.num_agpr, 0
	.set _ZN9rocsparseL15bsrilu0_generalILj128ELj64ELb0E21rocsparse_complex_numIfEEEv20rocsparse_direction_iPKiS5_PT2_S5_iPiS5_S8_21rocsparse_index_base_imNS_24const_host_device_scalarIfEENSA_IdEENSA_IS6_EEb.numbered_sgpr, 45
	.set _ZN9rocsparseL15bsrilu0_generalILj128ELj64ELb0E21rocsparse_complex_numIfEEEv20rocsparse_direction_iPKiS5_PT2_S5_iPiS5_S8_21rocsparse_index_base_imNS_24const_host_device_scalarIfEENSA_IdEENSA_IS6_EEb.num_named_barrier, 0
	.set _ZN9rocsparseL15bsrilu0_generalILj128ELj64ELb0E21rocsparse_complex_numIfEEEv20rocsparse_direction_iPKiS5_PT2_S5_iPiS5_S8_21rocsparse_index_base_imNS_24const_host_device_scalarIfEENSA_IdEENSA_IS6_EEb.private_seg_size, 0
	.set _ZN9rocsparseL15bsrilu0_generalILj128ELj64ELb0E21rocsparse_complex_numIfEEEv20rocsparse_direction_iPKiS5_PT2_S5_iPiS5_S8_21rocsparse_index_base_imNS_24const_host_device_scalarIfEENSA_IdEENSA_IS6_EEb.uses_vcc, 1
	.set _ZN9rocsparseL15bsrilu0_generalILj128ELj64ELb0E21rocsparse_complex_numIfEEEv20rocsparse_direction_iPKiS5_PT2_S5_iPiS5_S8_21rocsparse_index_base_imNS_24const_host_device_scalarIfEENSA_IdEENSA_IS6_EEb.uses_flat_scratch, 0
	.set _ZN9rocsparseL15bsrilu0_generalILj128ELj64ELb0E21rocsparse_complex_numIfEEEv20rocsparse_direction_iPKiS5_PT2_S5_iPiS5_S8_21rocsparse_index_base_imNS_24const_host_device_scalarIfEENSA_IdEENSA_IS6_EEb.has_dyn_sized_stack, 0
	.set _ZN9rocsparseL15bsrilu0_generalILj128ELj64ELb0E21rocsparse_complex_numIfEEEv20rocsparse_direction_iPKiS5_PT2_S5_iPiS5_S8_21rocsparse_index_base_imNS_24const_host_device_scalarIfEENSA_IdEENSA_IS6_EEb.has_recursion, 0
	.set _ZN9rocsparseL15bsrilu0_generalILj128ELj64ELb0E21rocsparse_complex_numIfEEEv20rocsparse_direction_iPKiS5_PT2_S5_iPiS5_S8_21rocsparse_index_base_imNS_24const_host_device_scalarIfEENSA_IdEENSA_IS6_EEb.has_indirect_call, 0
	.section	.AMDGPU.csdata,"",@progbits
; Kernel info:
; codeLenInByte = 4736
; TotalNumSgprs: 47
; NumVgprs: 41
; ScratchSize: 0
; MemoryBound: 0
; FloatMode: 240
; IeeeMode: 1
; LDSByteSize: 0 bytes/workgroup (compile time only)
; SGPRBlocks: 0
; VGPRBlocks: 5
; NumSGPRsForWavesPerEU: 47
; NumVGPRsForWavesPerEU: 41
; Occupancy: 16
; WaveLimiterHint : 1
; COMPUTE_PGM_RSRC2:SCRATCH_EN: 0
; COMPUTE_PGM_RSRC2:USER_SGPR: 6
; COMPUTE_PGM_RSRC2:TRAP_HANDLER: 0
; COMPUTE_PGM_RSRC2:TGID_X_EN: 1
; COMPUTE_PGM_RSRC2:TGID_Y_EN: 0
; COMPUTE_PGM_RSRC2:TGID_Z_EN: 0
; COMPUTE_PGM_RSRC2:TIDIG_COMP_CNT: 0
	.section	.text._ZN9rocsparseL15bsrilu0_generalILj128ELj64ELb1E21rocsparse_complex_numIdEEEv20rocsparse_direction_iPKiS5_PT2_S5_iPiS5_S8_21rocsparse_index_base_imNS_24const_host_device_scalarIfEENSA_IdEENSA_IS6_EEb,"axG",@progbits,_ZN9rocsparseL15bsrilu0_generalILj128ELj64ELb1E21rocsparse_complex_numIdEEEv20rocsparse_direction_iPKiS5_PT2_S5_iPiS5_S8_21rocsparse_index_base_imNS_24const_host_device_scalarIfEENSA_IdEENSA_IS6_EEb,comdat
	.globl	_ZN9rocsparseL15bsrilu0_generalILj128ELj64ELb1E21rocsparse_complex_numIdEEEv20rocsparse_direction_iPKiS5_PT2_S5_iPiS5_S8_21rocsparse_index_base_imNS_24const_host_device_scalarIfEENSA_IdEENSA_IS6_EEb ; -- Begin function _ZN9rocsparseL15bsrilu0_generalILj128ELj64ELb1E21rocsparse_complex_numIdEEEv20rocsparse_direction_iPKiS5_PT2_S5_iPiS5_S8_21rocsparse_index_base_imNS_24const_host_device_scalarIfEENSA_IdEENSA_IS6_EEb
	.p2align	8
	.type	_ZN9rocsparseL15bsrilu0_generalILj128ELj64ELb1E21rocsparse_complex_numIdEEEv20rocsparse_direction_iPKiS5_PT2_S5_iPiS5_S8_21rocsparse_index_base_imNS_24const_host_device_scalarIfEENSA_IdEENSA_IS6_EEb,@function
_ZN9rocsparseL15bsrilu0_generalILj128ELj64ELb1E21rocsparse_complex_numIdEEEv20rocsparse_direction_iPKiS5_PT2_S5_iPiS5_S8_21rocsparse_index_base_imNS_24const_host_device_scalarIfEENSA_IdEENSA_IS6_EEb: ; @_ZN9rocsparseL15bsrilu0_generalILj128ELj64ELb1E21rocsparse_complex_numIdEEEv20rocsparse_direction_iPKiS5_PT2_S5_iPiS5_S8_21rocsparse_index_base_imNS_24const_host_device_scalarIfEENSA_IdEENSA_IS6_EEb
; %bb.0:
	s_add_u32 s6, s6, s9
	s_addc_u32 s7, s7, 0
	s_setreg_b32 hwreg(HW_REG_FLAT_SCR_LO), s6
	s_setreg_b32 hwreg(HW_REG_FLAT_SCR_HI), s7
	s_add_u32 s0, s0, s9
	s_clause 0x3
	s_load_dword s9, s[4:5], 0x78
	s_load_dwordx2 s[10:11], s[4:5], 0x48
	s_load_dwordx8 s[20:27], s[4:5], 0x50
	s_load_dwordx2 s[6:7], s[4:5], 0x70
	s_addc_u32 s1, s1, 0
	s_waitcnt lgkmcnt(0)
	s_bitcmp1_b32 s9, 0
	s_cselect_b32 s9, -1, 0
	s_cmp_eq_u32 s11, 0
	v_mov_b32_e32 v1, s27
	s_cselect_b32 s15, -1, 0
	s_cmp_lg_u32 s11, 0
	v_mov_b32_e32 v2, s26
	s_cselect_b32 s11, -1, 0
	s_or_b32 s16, s15, s9
	buffer_store_dword v1, off, s[0:3], 0 offset:36
	s_xor_b32 s14, s16, -1
	s_and_b32 s12, s15, exec_lo
	s_cselect_b32 s13, 0, s25
	s_cselect_b32 s12, 0, s24
	s_and_b32 vcc_lo, exec_lo, s16
	buffer_store_dword v2, off, s[0:3], 0 offset:32
	s_cbranch_vccnz .LBB21_2
; %bb.1:
	s_load_dword s12, s[22:23], 0x0
	s_waitcnt lgkmcnt(0)
	v_mov_b32_e32 v36, s12
	s_mov_b64 s[12:13], s[24:25]
	v_mov_b32_e32 v23, s13
	v_mov_b32_e32 v22, s12
	s_andn2_b32 vcc_lo, exec_lo, s14
	s_cbranch_vccz .LBB21_3
	s_branch .LBB21_4
.LBB21_2:
	v_cndmask_b32_e64 v36, s22, 0, s15
	v_mov_b32_e32 v23, s13
	v_mov_b32_e32 v22, s12
	s_andn2_b32 vcc_lo, exec_lo, s14
	s_cbranch_vccnz .LBB21_4
.LBB21_3:
	v_mov_b32_e32 v1, s24
	v_mov_b32_e32 v2, s25
	flat_load_dwordx2 v[22:23], v[1:2]
.LBB21_4:
	v_mov_b32_e32 v1, 0
	v_mov_b32_e32 v3, 0
	v_cndmask_b32_e64 v35, 0, 1, s11
	v_mov_b32_e32 v2, 0
	v_mov_b32_e32 v4, 0
	s_andn2_b32 vcc_lo, exec_lo, s11
	s_cbranch_vccnz .LBB21_7
; %bb.5:
	s_mov_b64 s[12:13], src_private_base
	s_xor_b32 s11, s9, -1
	s_and_b32 s9, s9, exec_lo
	s_cselect_b32 s9, 32, s26
	s_cselect_b32 s12, s13, s27
	v_mov_b32_e32 v1, s9
	v_mov_b32_e32 v2, s12
	;; [unrolled: 1-line block ×4, first 2 shown]
	s_andn2_b32 vcc_lo, exec_lo, s11
	flat_load_dwordx2 v[1:2], v[1:2]
	s_cbranch_vccnz .LBB21_7
; %bb.6:
	v_mov_b32_e32 v3, s26
	v_mov_b32_e32 v4, s27
	flat_load_dwordx2 v[3:4], v[3:4] offset:8
.LBB21_7:
	s_load_dwordx2 s[28:29], s[4:5], 0x0
	v_lshrrev_b32_e32 v5, 6, v0
	s_lshl_b32 s6, s8, 1
	s_waitcnt vmcnt(0) lgkmcnt(0)
	buffer_store_dword v2, off, s[0:3], 0 offset:4
	buffer_store_dword v1, off, s[0:3], 0
	buffer_store_dword v4, off, s[0:3], 0 offset:12
	buffer_store_dword v3, off, s[0:3], 0 offset:8
	v_and_or_b32 v5, 0x3fffffe, s6, v5
	s_mov_b32 s6, exec_lo
	v_cmpx_gt_i32_e64 s29, v5
	s_cbranch_execz .LBB21_148
; %bb.8:
	s_clause 0x1
	s_load_dwordx4 s[24:27], s[4:5], 0x30
	s_load_dwordx2 s[22:23], s[4:5], 0x40
	v_lshlrev_b32_e32 v1, 2, v5
	s_load_dwordx8 s[12:19], s[4:5], 0x8
	v_and_b32_e32 v19, 63, v0
	s_mov_b32 s6, -1
	s_mov_b32 s9, exec_lo
	s_waitcnt lgkmcnt(0)
	global_load_dword v16, v1, s[26:27]
	s_waitcnt vmcnt(0)
	v_ashrrev_i32_e32 v17, 31, v16
	v_lshlrev_b64 v[17:18], 2, v[16:17]
	v_add_co_u32 v1, vcc_lo, s18, v17
	v_add_co_ci_u32_e64 v2, null, s19, v18, vcc_lo
	global_load_dword v20, v[1:2], off
	s_waitcnt vmcnt(0)
	v_cmpx_ne_u32_e32 -1, v20
	s_cbranch_execz .LBB21_142
; %bb.9:
	v_add_co_u32 v0, vcc_lo, s12, v17
	v_add_co_ci_u32_e64 v1, null, s13, v18, vcc_lo
	s_load_dword s26, s[4:5], 0x28
	s_mov_b32 s7, 0
	s_mov_b32 s11, exec_lo
	global_load_dwordx2 v[0:1], v[0:1], off
	s_waitcnt vmcnt(0)
	v_subrev_nc_u32_e32 v24, s10, v0
	v_subrev_nc_u32_e32 v34, s10, v1
	v_cmpx_lt_i32_e64 v24, v20
	s_cbranch_execz .LBB21_77
; %bb.10:
	v_add_nc_u32_e32 v26, v24, v19
	s_waitcnt lgkmcnt(0)
	v_mad_u64_u32 v[0:1], null, s26, v24, v[19:20]
	s_cmp_gt_i32 s26, 0
	v_cmp_gt_i32_e64 s4, s26, v19
	v_ashrrev_i32_e32 v27, 31, v26
	v_cmp_le_i32_e64 s5, s26, v19
	v_cmp_lt_i32_e64 s6, v26, v34
	s_cselect_b32 s27, -1, 0
	v_mul_lo_u32 v37, s26, v0
	v_lshlrev_b64 v[1:2], 2, v[26:27]
	s_cmp_lg_u32 s28, 0
	s_mov_b32 s31, 0
	s_cselect_b32 s30, -1, 0
	s_add_i32 s29, s29, 1
	s_mul_i32 s33, s26, s26
	v_add_co_u32 v27, vcc_lo, s14, v1
	v_add_co_ci_u32_e64 v28, null, s15, v2, vcc_lo
	v_add_nc_u32_e32 v38, 1, v37
	s_add_i32 s34, s26, 1
	s_lshl_b32 s35, s26, 6
	s_add_i32 s36, s26, -1
	s_mov_b32 s37, 0
                                        ; implicit-def: $sgpr38
                                        ; implicit-def: $sgpr39
	s_branch .LBB21_13
.LBB21_11:                              ;   in Loop: Header=BB21_13 Depth=1
	s_or_b32 exec_lo, exec_lo, s8
	s_andn2_b32 s8, s39, exec_lo
	s_and_b32 s31, s31, exec_lo
	s_or_b32 s39, s8, s31
.LBB21_12:                              ;   in Loop: Header=BB21_13 Depth=1
	s_or_b32 exec_lo, exec_lo, s40
	v_add_nc_u32_e32 v24, 1, v24
	s_xor_b32 s7, s7, -1
	v_add_nc_u32_e32 v38, s33, v38
	v_add_nc_u32_e32 v37, s33, v37
	s_mov_b32 s31, s39
	v_cmp_ge_i32_e32 vcc_lo, v24, v20
	s_or_b32 s7, s7, vcc_lo
	s_and_b32 s7, exec_lo, s7
	s_or_b32 s37, s7, s37
	s_andn2_b32 s7, s38, exec_lo
	s_and_b32 s8, s39, exec_lo
	s_or_b32 s38, s7, s8
	s_andn2_b32 exec_lo, exec_lo, s37
	s_cbranch_execz .LBB21_76
.LBB21_13:                              ; =>This Loop Header: Depth=1
                                        ;     Child Loop BB21_17 Depth 2
                                        ;       Child Loop BB21_18 Depth 3
                                        ;     Child Loop BB21_23 Depth 2
                                        ;       Child Loop BB21_28 Depth 3
                                        ;         Child Loop BB21_37 Depth 4
                                        ;     Child Loop BB21_50 Depth 2
                                        ;       Child Loop BB21_55 Depth 3
                                        ;       Child Loop BB21_62 Depth 3
                                        ;         Child Loop BB21_64 Depth 4
                                        ;           Child Loop BB21_66 Depth 5
	v_ashrrev_i32_e32 v25, 31, v24
	s_or_b32 s39, s39, exec_lo
	s_waitcnt lgkmcnt(0)
	v_lshlrev_b64 v[0:1], 2, v[24:25]
	v_add_co_u32 v0, vcc_lo, s14, v0
	v_add_co_ci_u32_e64 v1, null, s15, v1, vcc_lo
	global_load_dword v0, v[0:1], off
	s_waitcnt vmcnt(0)
	v_subrev_nc_u32_e32 v0, s10, v0
	v_ashrrev_i32_e32 v1, 31, v0
	v_lshlrev_b64 v[0:1], 2, v[0:1]
	v_add_co_u32 v2, vcc_lo, s18, v0
	v_add_co_ci_u32_e64 v3, null, s19, v1, vcc_lo
	global_load_dword v40, v[2:3], off
	s_waitcnt vmcnt(0)
	v_cmp_ne_u32_e64 s7, -1, v40
	s_and_saveexec_b32 s40, s7
	s_cbranch_execz .LBB21_12
; %bb.14:                               ;   in Loop: Header=BB21_13 Depth=1
	v_add_co_u32 v2, vcc_lo, s12, v0
	v_add_co_ci_u32_e64 v3, null, s13, v1, vcc_lo
	v_add_co_u32 v0, vcc_lo, s24, v0
	v_add_co_ci_u32_e64 v1, null, s25, v1, vcc_lo
	global_load_dword v41, v[2:3], off offset:4
	global_load_dword v2, v[0:1], off glc dlc
	s_mov_b32 s8, exec_lo
	s_waitcnt vmcnt(0)
	v_cmpx_eq_u32_e32 0, v2
	s_cbranch_execz .LBB21_19
; %bb.15:                               ;   in Loop: Header=BB21_13 Depth=1
	s_mov_b32 s41, 0
	s_mov_b32 s42, 0
	s_branch .LBB21_17
	.p2align	6
.LBB21_16:                              ;   in Loop: Header=BB21_17 Depth=2
	global_load_dword v2, v[0:1], off glc dlc
	s_cmpk_lt_u32 s42, 0xf43
	s_cselect_b32 s43, -1, 0
	s_cmp_lg_u32 s43, 0
	s_addc_u32 s42, s42, 0
	s_waitcnt vmcnt(0)
	v_cmp_ne_u32_e32 vcc_lo, 0, v2
	s_or_b32 s41, vcc_lo, s41
	s_andn2_b32 exec_lo, exec_lo, s41
	s_cbranch_execz .LBB21_19
.LBB21_17:                              ;   Parent Loop BB21_13 Depth=1
                                        ; =>  This Loop Header: Depth=2
                                        ;       Child Loop BB21_18 Depth 3
	s_cmp_eq_u32 s42, 0
	s_mov_b32 s43, s42
	s_cbranch_scc1 .LBB21_16
.LBB21_18:                              ;   Parent Loop BB21_13 Depth=1
                                        ;     Parent Loop BB21_17 Depth=2
                                        ; =>    This Inner Loop Header: Depth=3
	s_add_i32 s43, s43, -1
	s_sleep 1
	s_cmp_eq_u32 s43, 0
	s_cbranch_scc0 .LBB21_18
	s_branch .LBB21_16
.LBB21_19:                              ;   in Loop: Header=BB21_13 Depth=1
	s_or_b32 exec_lo, exec_lo, s8
	v_mul_lo_u32 v39, v24, s26
	s_andn2_b32 vcc_lo, exec_lo, s27
	s_waitcnt_vscnt null, 0x0
	buffer_gl1_inv
	buffer_gl0_inv
	s_cbranch_vccnz .LBB21_46
; %bb.20:                               ;   in Loop: Header=BB21_13 Depth=1
	v_mul_lo_u32 v42, v40, s26
	v_mad_u64_u32 v[29:30], null, s33, v40, 1
	v_mov_b32_e32 v21, 0
	v_mov_b32_e32 v43, v38
	s_mov_b32 s41, 0
	s_mov_b32 s42, s36
	s_branch .LBB21_23
.LBB21_21:                              ;   in Loop: Header=BB21_23 Depth=2
	s_or_b32 exec_lo, exec_lo, s44
	v_mov_b32_e32 v21, v44
.LBB21_22:                              ;   in Loop: Header=BB21_23 Depth=2
	s_or_b32 exec_lo, exec_lo, s43
	v_cmp_eq_u32_e32 vcc_lo, s26, v21
	v_add_nc_u32_e32 v29, s34, v29
	v_add_nc_u32_e32 v43, 1, v43
	s_add_i32 s42, s42, -1
	s_or_b32 s41, vcc_lo, s41
	s_andn2_b32 exec_lo, exec_lo, s41
	s_cbranch_execz .LBB21_45
.LBB21_23:                              ;   Parent Loop BB21_13 Depth=1
                                        ; =>  This Loop Header: Depth=2
                                        ;       Child Loop BB21_28 Depth 3
                                        ;         Child Loop BB21_37 Depth 4
	v_add_nc_u32_e32 v44, 1, v21
	s_and_saveexec_b32 s8, s5
	s_xor_b32 s8, exec_lo, s8
; %bb.24:                               ;   in Loop: Header=BB21_23 Depth=2
	v_add_nc_u32_e32 v21, 1, v21
                                        ; implicit-def: $vgpr44
; %bb.25:                               ;   in Loop: Header=BB21_23 Depth=2
	s_andn2_saveexec_b32 s43, s8
	s_cbranch_execz .LBB21_22
; %bb.26:                               ;   in Loop: Header=BB21_23 Depth=2
	v_add_nc_u32_e32 v0, v21, v42
	v_cmp_gt_i32_e64 s8, s26, v44
	v_mov_b32_e32 v46, v43
	v_mov_b32_e32 v25, v19
	s_mov_b32 s44, 0
	v_mad_u64_u32 v[0:1], null, v0, s26, v[21:22]
	v_ashrrev_i32_e32 v1, 31, v0
	v_lshlrev_b64 v[0:1], 4, v[0:1]
	v_add_co_u32 v0, vcc_lo, s16, v0
	v_add_co_ci_u32_e64 v1, null, s17, v1, vcc_lo
	global_load_dwordx4 v[0:3], v[0:1], off
	s_waitcnt vmcnt(0)
	v_mul_f64 v[4:5], v[2:3], v[2:3]
	v_fma_f64 v[4:5], v[0:1], v[0:1], v[4:5]
	v_div_scale_f64 v[6:7], null, v[4:5], v[4:5], 1.0
	v_rcp_f64_e32 v[8:9], v[6:7]
	v_fma_f64 v[10:11], -v[6:7], v[8:9], 1.0
	v_fma_f64 v[8:9], v[8:9], v[10:11], v[8:9]
	v_fma_f64 v[10:11], -v[6:7], v[8:9], 1.0
	v_fma_f64 v[8:9], v[8:9], v[10:11], v[8:9]
	v_div_scale_f64 v[10:11], vcc_lo, 1.0, v[4:5], 1.0
	v_mul_f64 v[12:13], v[10:11], v[8:9]
	v_fma_f64 v[6:7], -v[6:7], v[12:13], v[10:11]
	v_div_fmas_f64 v[6:7], v[6:7], v[8:9], v[12:13]
	v_div_fixup_f64 v[30:31], v[6:7], v[4:5], 1.0
	v_add_nc_u32_e32 v4, v21, v39
	v_mul_lo_u32 v45, v4, s26
	s_branch .LBB21_28
.LBB21_27:                              ;   in Loop: Header=BB21_28 Depth=3
	s_or_b32 exec_lo, exec_lo, s45
	v_add_nc_u32_e32 v25, 64, v25
	v_add_nc_u32_e32 v46, s35, v46
	v_cmp_le_i32_e32 vcc_lo, s26, v25
	s_or_b32 s44, vcc_lo, s44
	s_andn2_b32 exec_lo, exec_lo, s44
	s_cbranch_execz .LBB21_21
.LBB21_28:                              ;   Parent Loop BB21_13 Depth=1
                                        ;     Parent Loop BB21_23 Depth=2
                                        ; =>    This Loop Header: Depth=3
                                        ;         Child Loop BB21_37 Depth 4
	v_add_nc_u32_e32 v8, v25, v45
	s_and_b32 vcc_lo, exec_lo, s30
	s_cbranch_vccz .LBB21_43
; %bb.29:                               ;   in Loop: Header=BB21_28 Depth=3
	v_add_nc_u32_e32 v4, v25, v45
	v_add_nc_u32_e32 v9, v25, v39
	s_cbranch_execnz .LBB21_31
.LBB21_30:                              ;   in Loop: Header=BB21_28 Depth=3
	v_mad_u64_u32 v[4:5], null, v9, s26, v[21:22]
.LBB21_31:                              ;   in Loop: Header=BB21_28 Depth=3
	v_ashrrev_i32_e32 v5, 31, v4
	v_lshlrev_b64 v[4:5], 4, v[4:5]
	v_add_co_u32 v4, vcc_lo, s16, v4
	v_add_co_ci_u32_e64 v5, null, s17, v5, vcc_lo
	s_and_b32 vcc_lo, exec_lo, s30
	global_load_dwordx4 v[4:7], v[4:5], off
	s_cbranch_vccz .LBB21_44
; %bb.32:                               ;   in Loop: Header=BB21_28 Depth=3
	s_cbranch_execnz .LBB21_34
.LBB21_33:                              ;   in Loop: Header=BB21_28 Depth=3
	v_mad_u64_u32 v[8:9], null, v9, s26, v[21:22]
.LBB21_34:                              ;   in Loop: Header=BB21_28 Depth=3
	s_waitcnt vmcnt(0)
	v_mul_f64 v[9:10], v[2:3], v[6:7]
	v_mul_f64 v[11:12], v[2:3], -v[4:5]
	v_fma_f64 v[4:5], v[4:5], v[0:1], v[9:10]
	v_fma_f64 v[6:7], v[6:7], v[0:1], v[11:12]
	v_ashrrev_i32_e32 v9, 31, v8
	v_lshlrev_b64 v[8:9], 4, v[8:9]
	v_add_co_u32 v8, vcc_lo, s16, v8
	v_add_co_ci_u32_e64 v9, null, s17, v9, vcc_lo
	v_mul_f64 v[4:5], v[30:31], v[4:5]
	v_mul_f64 v[6:7], v[30:31], v[6:7]
	global_store_dwordx4 v[8:9], v[4:7], off
	s_and_saveexec_b32 s45, s8
	s_cbranch_execz .LBB21_27
; %bb.35:                               ;   in Loop: Header=BB21_28 Depth=3
	v_mov_b32_e32 v47, v46
	v_mov_b32_e32 v48, v29
	;; [unrolled: 1-line block ×3, first 2 shown]
	s_mov_b32 s46, s42
	s_branch .LBB21_37
.LBB21_36:                              ;   in Loop: Header=BB21_37 Depth=4
	s_waitcnt vmcnt(0)
	v_fma_f64 v[12:13], -v[4:5], v[8:9], v[12:13]
	v_fma_f64 v[14:15], -v[6:7], v[8:9], v[14:15]
	v_ashrrev_i32_e32 v33, 31, v32
	v_add_nc_u32_e32 v49, 1, v49
	v_add_nc_u32_e32 v48, 1, v48
	;; [unrolled: 1-line block ×3, first 2 shown]
	s_add_i32 s46, s46, -1
	s_cmp_eq_u32 s46, 0
	v_fma_f64 v[8:9], v[6:7], v[10:11], v[12:13]
	v_fma_f64 v[10:11], -v[4:5], v[10:11], v[14:15]
	v_lshlrev_b64 v[12:13], 4, v[32:33]
	v_add_co_u32 v12, vcc_lo, s16, v12
	v_add_co_ci_u32_e64 v13, null, s17, v13, vcc_lo
	global_store_dwordx4 v[12:13], v[8:11], off
	s_cbranch_scc1 .LBB21_27
.LBB21_37:                              ;   Parent Loop BB21_13 Depth=1
                                        ;     Parent Loop BB21_23 Depth=2
                                        ;       Parent Loop BB21_28 Depth=3
                                        ; =>      This Inner Loop Header: Depth=4
	v_mov_b32_e32 v8, v48
	s_andn2_b32 vcc_lo, exec_lo, s30
	s_cbranch_vccnz .LBB21_39
; %bb.38:                               ;   in Loop: Header=BB21_37 Depth=4
	v_add_nc_u32_e32 v8, v49, v42
	v_mad_u64_u32 v[8:9], null, v8, s26, v[21:22]
.LBB21_39:                              ;   in Loop: Header=BB21_37 Depth=4
	v_ashrrev_i32_e32 v9, 31, v8
	v_add_nc_u32_e32 v33, v49, v39
	v_mov_b32_e32 v12, v47
	v_lshlrev_b64 v[8:9], 4, v[8:9]
	v_add_co_u32 v8, vcc_lo, s16, v8
	v_add_co_ci_u32_e64 v9, null, s17, v9, vcc_lo
	s_andn2_b32 vcc_lo, exec_lo, s30
	global_load_dwordx4 v[8:11], v[8:9], off
	s_cbranch_vccnz .LBB21_41
; %bb.40:                               ;   in Loop: Header=BB21_37 Depth=4
	v_mad_u64_u32 v[12:13], null, v33, s26, v[25:26]
.LBB21_41:                              ;   in Loop: Header=BB21_37 Depth=4
	v_ashrrev_i32_e32 v13, 31, v12
	v_mov_b32_e32 v32, v47
	v_lshlrev_b64 v[12:13], 4, v[12:13]
	v_add_co_u32 v12, vcc_lo, s16, v12
	v_add_co_ci_u32_e64 v13, null, s17, v13, vcc_lo
	s_andn2_b32 vcc_lo, exec_lo, s30
	global_load_dwordx4 v[12:15], v[12:13], off
	s_cbranch_vccnz .LBB21_36
; %bb.42:                               ;   in Loop: Header=BB21_37 Depth=4
	v_mad_u64_u32 v[32:33], null, v33, s26, v[25:26]
	s_branch .LBB21_36
.LBB21_43:                              ;   in Loop: Header=BB21_28 Depth=3
                                        ; implicit-def: $vgpr4
	v_add_nc_u32_e32 v9, v25, v39
	s_branch .LBB21_30
.LBB21_44:                              ;   in Loop: Header=BB21_28 Depth=3
                                        ; implicit-def: $vgpr8
	s_branch .LBB21_33
.LBB21_45:                              ;   in Loop: Header=BB21_13 Depth=1
	s_or_b32 exec_lo, exec_lo, s41
.LBB21_46:                              ;   in Loop: Header=BB21_13 Depth=1
	v_subrev_nc_u32_e32 v12, s10, v41
	v_add_nc_u32_e32 v4, 1, v40
	s_mov_b32 s8, exec_lo
	v_cmpx_lt_i32_e64 v4, v12
	s_cbranch_execz .LBB21_11
; %bb.47:                               ;   in Loop: Header=BB21_13 Depth=1
	v_mul_lo_u32 v13, s33, v4
	s_mov_b32 s41, 0
	s_branch .LBB21_50
.LBB21_48:                              ;   in Loop: Header=BB21_50 Depth=2
	s_or_b32 exec_lo, exec_lo, s42
.LBB21_49:                              ;   in Loop: Header=BB21_50 Depth=2
	v_add_nc_u32_e32 v4, 1, v4
	v_add_nc_u32_e32 v13, s33, v13
	v_cmp_ge_i32_e32 vcc_lo, v4, v12
	s_or_b32 s41, vcc_lo, s41
	s_andn2_b32 exec_lo, exec_lo, s41
	s_cbranch_execz .LBB21_11
.LBB21_50:                              ;   Parent Loop BB21_13 Depth=1
                                        ; =>  This Loop Header: Depth=2
                                        ;       Child Loop BB21_55 Depth 3
                                        ;       Child Loop BB21_62 Depth 3
                                        ;         Child Loop BB21_64 Depth 4
                                        ;           Child Loop BB21_66 Depth 5
	v_ashrrev_i32_e32 v5, 31, v4
	s_waitcnt lgkmcnt(0)
	v_lshlrev_b64 v[0:1], 2, v[4:5]
	v_add_co_u32 v0, vcc_lo, s14, v0
	v_add_co_ci_u32_e64 v1, null, s15, v1, vcc_lo
	global_load_dword v0, v[0:1], off
	v_mov_b32_e32 v1, s29
	s_and_saveexec_b32 s42, s6
	s_cbranch_execz .LBB21_52
; %bb.51:                               ;   in Loop: Header=BB21_50 Depth=2
	global_load_dword v1, v[27:28], off
	s_waitcnt vmcnt(0)
	v_subrev_nc_u32_e32 v1, s10, v1
.LBB21_52:                              ;   in Loop: Header=BB21_50 Depth=2
	s_or_b32 exec_lo, exec_lo, s42
	s_waitcnt vmcnt(0)
	v_subrev_nc_u32_e32 v2, s10, v0
	v_mov_b32_e32 v3, v26
	s_mov_b32 s42, exec_lo
	v_cmpx_lt_i32_e64 v1, v2
	s_cbranch_execz .LBB21_58
; %bb.53:                               ;   in Loop: Header=BB21_50 Depth=2
	v_mov_b32_e32 v0, v26
	s_mov_b32 s43, 0
	s_branch .LBB21_55
	.p2align	6
.LBB21_54:                              ;   in Loop: Header=BB21_55 Depth=3
	s_or_b32 exec_lo, exec_lo, s44
	v_cmp_ge_i32_e32 vcc_lo, v1, v2
	v_mov_b32_e32 v0, v3
	s_or_b32 s43, vcc_lo, s43
	s_andn2_b32 exec_lo, exec_lo, s43
	s_cbranch_execz .LBB21_57
.LBB21_55:                              ;   Parent Loop BB21_13 Depth=1
                                        ;     Parent Loop BB21_50 Depth=2
                                        ; =>    This Inner Loop Header: Depth=3
	v_add_nc_u32_e32 v3, 64, v0
	v_mov_b32_e32 v1, s29
	s_mov_b32 s44, exec_lo
	v_cmpx_lt_i32_e64 v3, v34
	s_cbranch_execz .LBB21_54
; %bb.56:                               ;   in Loop: Header=BB21_55 Depth=3
	v_ashrrev_i32_e32 v1, 31, v0
	v_lshlrev_b64 v[0:1], 2, v[0:1]
	v_add_co_u32 v0, vcc_lo, s14, v0
	v_add_co_ci_u32_e64 v1, null, s15, v1, vcc_lo
	global_load_dword v0, v[0:1], off offset:256
	s_waitcnt vmcnt(0)
	v_subrev_nc_u32_e32 v1, s10, v0
	s_branch .LBB21_54
.LBB21_57:                              ;   in Loop: Header=BB21_50 Depth=2
	s_or_b32 exec_lo, exec_lo, s43
.LBB21_58:                              ;   in Loop: Header=BB21_50 Depth=2
	s_or_b32 exec_lo, exec_lo, s42
	v_cmp_eq_u32_e32 vcc_lo, v1, v2
	s_cbranch_vccz .LBB21_49
; %bb.59:                               ;   in Loop: Header=BB21_50 Depth=2
	s_ff1_i32_b32 s42, vcc_lo
	s_lshl_b32 s42, s42, 2
	v_mov_b32_e32 v0, s42
	ds_bpermute_b32 v0, v0, v3
	s_and_saveexec_b32 s42, s4
	s_cbranch_execz .LBB21_48
; %bb.60:                               ;   in Loop: Header=BB21_50 Depth=2
	v_mul_lo_u32 v14, v4, s26
	s_waitcnt lgkmcnt(0)
	v_mul_lo_u32 v15, v0, s26
	v_mov_b32_e32 v21, v37
	v_mov_b32_e32 v5, v19
	s_mov_b32 s43, 0
	s_branch .LBB21_62
.LBB21_61:                              ;   in Loop: Header=BB21_62 Depth=3
	v_add_nc_u32_e32 v5, 64, v5
	v_add_nc_u32_e32 v21, s35, v21
	v_cmp_le_i32_e32 vcc_lo, s26, v5
	s_or_b32 s43, vcc_lo, s43
	s_andn2_b32 exec_lo, exec_lo, s43
	s_cbranch_execz .LBB21_48
.LBB21_62:                              ;   Parent Loop BB21_13 Depth=1
                                        ;     Parent Loop BB21_50 Depth=2
                                        ; =>    This Loop Header: Depth=3
                                        ;         Child Loop BB21_64 Depth 4
                                        ;           Child Loop BB21_66 Depth 5
	v_add_nc_u32_e32 v0, v5, v15
	v_mov_b32_e32 v29, v13
	s_mov_b32 s44, 0
	v_mul_lo_u32 v25, v0, s26
	s_branch .LBB21_64
.LBB21_63:                              ;   in Loop: Header=BB21_64 Depth=4
	v_ashrrev_i32_e32 v1, 31, v0
	v_add_nc_u32_e32 v29, 1, v29
	s_add_i32 s44, s44, 1
	s_cmp_eq_u32 s44, s26
	v_lshlrev_b64 v[0:1], 4, v[0:1]
	v_add_co_u32 v10, vcc_lo, s16, v0
	v_add_co_ci_u32_e64 v11, null, s17, v1, vcc_lo
	global_load_dwordx4 v[0:3], v[10:11], off
	s_waitcnt vmcnt(0)
	v_add_f64 v[0:1], v[0:1], -v[6:7]
	v_add_f64 v[2:3], v[2:3], -v[8:9]
	global_store_dwordx4 v[10:11], v[0:3], off
	s_cbranch_scc1 .LBB21_61
.LBB21_64:                              ;   Parent Loop BB21_13 Depth=1
                                        ;     Parent Loop BB21_50 Depth=2
                                        ;       Parent Loop BB21_62 Depth=3
                                        ; =>      This Loop Header: Depth=4
                                        ;           Child Loop BB21_66 Depth 5
	v_add_nc_u32_e32 v0, s44, v14
	v_mov_b32_e32 v6, 0
	v_mov_b32_e32 v8, 0
	v_mov_b32_e32 v7, 0
	v_mov_b32_e32 v9, 0
	v_mul_lo_u32 v30, v0, s26
	v_mov_b32_e32 v31, v29
	s_mov_b32 s45, 0
	s_inst_prefetch 0x1
	s_branch .LBB21_66
	.p2align	6
.LBB21_65:                              ;   in Loop: Header=BB21_66 Depth=5
	v_ashrrev_i32_e32 v11, 31, v10
	v_add_nc_u32_e32 v31, s26, v31
	s_add_i32 s45, s45, 1
	s_cmp_eq_u32 s26, s45
	v_lshlrev_b64 v[10:11], 4, v[10:11]
	v_add_co_u32 v10, vcc_lo, s16, v10
	v_add_co_ci_u32_e64 v11, null, s17, v11, vcc_lo
	global_load_dwordx4 v[40:43], v[10:11], off
	s_waitcnt vmcnt(0)
	v_fma_f64 v[6:7], v[0:1], v[40:41], v[6:7]
	v_fma_f64 v[8:9], v[2:3], v[40:41], v[8:9]
	v_fma_f64 v[6:7], -v[2:3], v[42:43], v[6:7]
	v_fma_f64 v[8:9], v[0:1], v[42:43], v[8:9]
	s_cbranch_scc1 .LBB21_72
.LBB21_66:                              ;   Parent Loop BB21_13 Depth=1
                                        ;     Parent Loop BB21_50 Depth=2
                                        ;       Parent Loop BB21_62 Depth=3
                                        ;         Parent Loop BB21_64 Depth=4
                                        ; =>        This Inner Loop Header: Depth=5
	s_and_b32 vcc_lo, exec_lo, s30
	s_cbranch_vccz .LBB21_71
; %bb.67:                               ;   in Loop: Header=BB21_66 Depth=5
	v_add_nc_u32_e32 v0, s45, v39
	v_mad_u64_u32 v[0:1], null, v0, s26, v[5:6]
	s_cbranch_execnz .LBB21_69
.LBB21_68:                              ;   in Loop: Header=BB21_66 Depth=5
	v_add_nc_u32_e32 v0, s45, v21
.LBB21_69:                              ;   in Loop: Header=BB21_66 Depth=5
	v_ashrrev_i32_e32 v1, 31, v0
	v_mov_b32_e32 v10, v31
	v_lshlrev_b64 v[0:1], 4, v[0:1]
	v_add_co_u32 v0, vcc_lo, s16, v0
	v_add_co_ci_u32_e64 v1, null, s17, v1, vcc_lo
	s_andn2_b32 vcc_lo, exec_lo, s30
	global_load_dwordx4 v[0:3], v[0:1], off
	s_cbranch_vccnz .LBB21_65
; %bb.70:                               ;   in Loop: Header=BB21_66 Depth=5
	v_add_nc_u32_e32 v10, s45, v30
	s_branch .LBB21_65
.LBB21_71:                              ;   in Loop: Header=BB21_66 Depth=5
                                        ; implicit-def: $vgpr0
	s_branch .LBB21_68
.LBB21_72:                              ;   in Loop: Header=BB21_64 Depth=4
	s_inst_prefetch 0x2
	s_and_b32 vcc_lo, exec_lo, s30
	s_cbranch_vccz .LBB21_74
; %bb.73:                               ;   in Loop: Header=BB21_64 Depth=4
	v_add_nc_u32_e32 v0, s44, v15
	v_mad_u64_u32 v[0:1], null, v0, s26, v[5:6]
	s_cbranch_execnz .LBB21_63
	s_branch .LBB21_75
.LBB21_74:                              ;   in Loop: Header=BB21_64 Depth=4
                                        ; implicit-def: $vgpr0
.LBB21_75:                              ;   in Loop: Header=BB21_64 Depth=4
	v_add_nc_u32_e32 v0, s44, v25
	s_branch .LBB21_63
.LBB21_76:
	s_or_b32 exec_lo, exec_lo, s37
	s_and_b32 s7, s38, exec_lo
.LBB21_77:
	s_or_b32 exec_lo, exec_lo, s11
	v_ashrrev_i32_e32 v21, 31, v20
	s_waitcnt lgkmcnt(0)
	s_cmp_gt_i32 s26, 0
	s_mov_b32 s12, 0
	s_cselect_b32 s8, -1, 0
	v_lshlrev_b64 v[0:1], 2, v[20:21]
	v_add_co_u32 v0, vcc_lo, s14, v0
	v_add_co_ci_u32_e64 v1, null, s15, v1, vcc_lo
	global_load_dword v0, v[0:1], off
	s_waitcnt vmcnt(0)
	v_subrev_nc_u32_e32 v0, s10, v0
	v_cmp_eq_u32_e32 vcc_lo, v0, v16
	s_and_b32 s4, s8, vcc_lo
	s_and_saveexec_b32 s11, s4
	s_cbranch_execz .LBB21_117
; %bb.78:
	v_cvt_f64_f32_e32 v[0:1], v36
	v_mul_lo_u32 v31, v20, s26
	s_cmp_eq_u64 s[20:21], 8
	s_mul_i32 s5, s26, s26
	s_cselect_b32 vcc_lo, -1, 0
	s_cmp_lg_u32 s28, 0
	v_mad_u64_u32 v[12:13], null, v20, s5, 1
	s_cselect_b32 s13, -1, 0
	v_add_nc_u32_e32 v2, v31, v19
	s_add_i32 s6, s26, 1
	v_cmp_eq_u32_e64 s4, 0, v19
	v_mov_b32_e32 v21, 0
	v_mov_b32_e32 v32, 0
	v_mad_u64_u32 v[13:14], null, s26, v2, s[6:7]
	s_lshl_b32 s14, s26, 6
	s_add_i32 s15, s26, -1
	s_mov_b32 s19, s7
                                        ; implicit-def: $sgpr18
	v_cndmask_b32_e32 v15, v1, v23, vcc_lo
	v_cndmask_b32_e32 v14, v0, v22, vcc_lo
	s_branch .LBB21_80
.LBB21_79:                              ;   in Loop: Header=BB21_80 Depth=1
	s_or_b32 exec_lo, exec_lo, s5
	v_cmp_eq_u32_e32 vcc_lo, s26, v36
	s_add_i32 s15, s15, -1
	v_add_nc_u32_e32 v12, s6, v12
	v_add_nc_u32_e32 v13, s6, v13
	v_mov_b32_e32 v21, v36
	s_or_b32 s12, vcc_lo, s12
	s_andn2_b32 s5, s18, exec_lo
	s_and_b32 s18, s19, exec_lo
	s_or_b32 s18, s5, s18
	s_andn2_b32 exec_lo, exec_lo, s12
	s_cbranch_execz .LBB21_116
.LBB21_80:                              ; =>This Loop Header: Depth=1
                                        ;     Child Loop BB21_96 Depth 2
                                        ;       Child Loop BB21_105 Depth 3
	v_add_nc_u32_e32 v0, v21, v31
	s_mov_b32 s20, 0
	s_mov_b32 s21, 0
	s_mov_b32 s5, -1
	v_mul_lo_u32 v33, v0, s26
	v_add_nc_u32_e32 v0, v33, v21
	v_ashrrev_i32_e32 v1, 31, v0
	v_lshlrev_b64 v[0:1], 4, v[0:1]
	v_add_co_u32 v4, vcc_lo, s16, v0
	v_add_co_ci_u32_e64 v5, null, s17, v1, vcc_lo
	v_cmp_ne_u32_e32 vcc_lo, 1, v35
	global_load_dwordx4 v[0:3], v[4:5], off
	s_waitcnt vmcnt(0)
	buffer_store_dword v3, off, s[0:3], 0 offset:28
	buffer_store_dword v2, off, s[0:3], 0 offset:24
	;; [unrolled: 1-line block ×4, first 2 shown]
	s_cbranch_vccz .LBB21_83
; %bb.81:                               ;   in Loop: Header=BB21_80 Depth=1
	s_and_b32 vcc_lo, exec_lo, s5
	s_cbranch_vccnz .LBB21_92
.LBB21_82:                              ;   in Loop: Header=BB21_80 Depth=1
                                        ; implicit-def: $vgpr36
	s_and_saveexec_b32 s5, s21
	s_xor_b32 s21, exec_lo, s5
	s_cbranch_execnz .LBB21_93
	s_branch .LBB21_114
.LBB21_83:                              ;   in Loop: Header=BB21_80 Depth=1
	v_cmp_gt_f64_e32 vcc_lo, 0, v[0:1]
	v_xor_b32_e32 v7, 0x80000000, v1
	v_xor_b32_e32 v8, 0x80000000, v3
	v_mov_b32_e32 v6, v0
	s_mov_b32 s5, exec_lo
                                        ; implicit-def: $vgpr10_vgpr11
	v_cndmask_b32_e32 v7, v1, v7, vcc_lo
	v_cmp_gt_f64_e32 vcc_lo, 0, v[2:3]
	v_cndmask_b32_e32 v9, v3, v8, vcc_lo
	v_mov_b32_e32 v8, v2
	v_cmpx_ngt_f64_e32 v[6:7], v[8:9]
	s_xor_b32 s5, exec_lo, s5
	s_cbranch_execz .LBB21_87
; %bb.84:                               ;   in Loop: Header=BB21_80 Depth=1
	v_mov_b32_e32 v10, 0
	v_mov_b32_e32 v11, 0
	s_mov_b32 s21, exec_lo
	v_cmpx_neq_f64_e32 0, v[2:3]
	s_cbranch_execz .LBB21_86
; %bb.85:                               ;   in Loop: Header=BB21_80 Depth=1
	v_div_scale_f64 v[10:11], null, v[8:9], v[8:9], v[6:7]
	v_div_scale_f64 v[26:27], vcc_lo, v[6:7], v[8:9], v[6:7]
	v_rcp_f64_e32 v[22:23], v[10:11]
	v_fma_f64 v[24:25], -v[10:11], v[22:23], 1.0
	v_fma_f64 v[22:23], v[22:23], v[24:25], v[22:23]
	v_fma_f64 v[24:25], -v[10:11], v[22:23], 1.0
	v_fma_f64 v[22:23], v[22:23], v[24:25], v[22:23]
	v_mul_f64 v[24:25], v[26:27], v[22:23]
	v_fma_f64 v[10:11], -v[10:11], v[24:25], v[26:27]
	v_div_fmas_f64 v[10:11], v[10:11], v[22:23], v[24:25]
	v_div_fixup_f64 v[6:7], v[10:11], v[8:9], v[6:7]
	v_fma_f64 v[6:7], v[6:7], v[6:7], 1.0
	v_cmp_gt_f64_e32 vcc_lo, 0x10000000, v[6:7]
	v_cndmask_b32_e64 v10, 0, 0x100, vcc_lo
	v_ldexp_f64 v[6:7], v[6:7], v10
	v_rsq_f64_e32 v[10:11], v[6:7]
	v_mul_f64 v[22:23], v[6:7], v[10:11]
	v_mul_f64 v[10:11], v[10:11], 0.5
	v_fma_f64 v[24:25], -v[10:11], v[22:23], 0.5
	v_fma_f64 v[22:23], v[22:23], v[24:25], v[22:23]
	v_fma_f64 v[10:11], v[10:11], v[24:25], v[10:11]
	v_fma_f64 v[24:25], -v[22:23], v[22:23], v[6:7]
	v_fma_f64 v[22:23], v[24:25], v[10:11], v[22:23]
	v_fma_f64 v[24:25], -v[22:23], v[22:23], v[6:7]
	v_fma_f64 v[10:11], v[24:25], v[10:11], v[22:23]
	v_cndmask_b32_e64 v22, 0, 0xffffff80, vcc_lo
	v_cmp_class_f64_e64 vcc_lo, v[6:7], 0x260
	v_ldexp_f64 v[10:11], v[10:11], v22
	v_cndmask_b32_e32 v7, v11, v7, vcc_lo
	v_cndmask_b32_e32 v6, v10, v6, vcc_lo
	v_mul_f64 v[10:11], v[8:9], v[6:7]
.LBB21_86:                              ;   in Loop: Header=BB21_80 Depth=1
	s_or_b32 exec_lo, exec_lo, s21
                                        ; implicit-def: $vgpr6_vgpr7
                                        ; implicit-def: $vgpr8_vgpr9
.LBB21_87:                              ;   in Loop: Header=BB21_80 Depth=1
	s_andn2_saveexec_b32 s5, s5
	s_cbranch_execz .LBB21_89
; %bb.88:                               ;   in Loop: Header=BB21_80 Depth=1
	v_div_scale_f64 v[10:11], null, v[6:7], v[6:7], v[8:9]
	v_div_scale_f64 v[26:27], vcc_lo, v[8:9], v[6:7], v[8:9]
	v_rcp_f64_e32 v[22:23], v[10:11]
	v_fma_f64 v[24:25], -v[10:11], v[22:23], 1.0
	v_fma_f64 v[22:23], v[22:23], v[24:25], v[22:23]
	v_fma_f64 v[24:25], -v[10:11], v[22:23], 1.0
	v_fma_f64 v[22:23], v[22:23], v[24:25], v[22:23]
	v_mul_f64 v[24:25], v[26:27], v[22:23]
	v_fma_f64 v[10:11], -v[10:11], v[24:25], v[26:27]
	v_div_fmas_f64 v[10:11], v[10:11], v[22:23], v[24:25]
	v_div_fixup_f64 v[8:9], v[10:11], v[6:7], v[8:9]
	v_fma_f64 v[8:9], v[8:9], v[8:9], 1.0
	v_cmp_gt_f64_e32 vcc_lo, 0x10000000, v[8:9]
	v_cndmask_b32_e64 v10, 0, 0x100, vcc_lo
	v_ldexp_f64 v[8:9], v[8:9], v10
	v_rsq_f64_e32 v[10:11], v[8:9]
	v_mul_f64 v[22:23], v[8:9], v[10:11]
	v_mul_f64 v[10:11], v[10:11], 0.5
	v_fma_f64 v[24:25], -v[10:11], v[22:23], 0.5
	v_fma_f64 v[22:23], v[22:23], v[24:25], v[22:23]
	v_fma_f64 v[10:11], v[10:11], v[24:25], v[10:11]
	v_fma_f64 v[24:25], -v[22:23], v[22:23], v[8:9]
	v_fma_f64 v[22:23], v[24:25], v[10:11], v[22:23]
	v_fma_f64 v[24:25], -v[22:23], v[22:23], v[8:9]
	v_fma_f64 v[10:11], v[24:25], v[10:11], v[22:23]
	v_cndmask_b32_e64 v22, 0, 0xffffff80, vcc_lo
	v_cmp_class_f64_e64 vcc_lo, v[8:9], 0x260
	v_ldexp_f64 v[10:11], v[10:11], v22
	v_cndmask_b32_e32 v9, v11, v9, vcc_lo
	v_cndmask_b32_e32 v8, v10, v8, vcc_lo
	v_mul_f64 v[10:11], v[6:7], v[8:9]
.LBB21_89:                              ;   in Loop: Header=BB21_80 Depth=1
	s_or_b32 exec_lo, exec_lo, s5
	v_cmp_ge_f64_e32 vcc_lo, v[14:15], v[10:11]
	v_cndmask_b32_e32 v6, 16, v32, vcc_lo
	s_clause 0x3
	buffer_load_dword v7, v6, s[0:3], 0 offen
	buffer_load_dword v8, v6, s[0:3], 0 offen offset:4
	buffer_load_dword v9, v6, s[0:3], 0 offen offset:8
	;; [unrolled: 1-line block ×3, first 2 shown]
	s_waitcnt vmcnt(3)
	buffer_store_dword v7, off, s[0:3], 0 offset:16
	s_waitcnt vmcnt(2)
	buffer_store_dword v8, off, s[0:3], 0 offset:20
	;; [unrolled: 2-line block ×4, first 2 shown]
	s_and_saveexec_b32 s5, s4
	s_cbranch_execz .LBB21_91
; %bb.90:                               ;   in Loop: Header=BB21_80 Depth=1
	s_clause 0x3
	buffer_load_dword v7, v6, s[0:3], 0 offen
	buffer_load_dword v8, v6, s[0:3], 0 offen offset:4
	buffer_load_dword v9, v6, s[0:3], 0 offen offset:8
	buffer_load_dword v10, v6, s[0:3], 0 offen offset:12
	s_waitcnt vmcnt(0)
	global_store_dwordx4 v[4:5], v[7:10], off
.LBB21_91:                              ;   in Loop: Header=BB21_80 Depth=1
	s_or_b32 exec_lo, exec_lo, s5
	s_mov_b32 s21, -1
	s_branch .LBB21_82
.LBB21_92:                              ;   in Loop: Header=BB21_80 Depth=1
	v_cmp_neq_f64_e32 vcc_lo, 0, v[0:1]
	v_cmp_neq_f64_e64 s5, 0, v[2:3]
	s_andn2_b32 s21, s21, exec_lo
	s_mov_b32 s20, -1
	s_or_b32 s5, vcc_lo, s5
	s_and_b32 s5, s5, exec_lo
	s_or_b32 s21, s21, s5
                                        ; implicit-def: $vgpr36
	s_and_saveexec_b32 s5, s21
	s_xor_b32 s21, exec_lo, s5
	s_cbranch_execz .LBB21_114
.LBB21_93:                              ;   in Loop: Header=BB21_80 Depth=1
	v_add_nc_u32_e32 v36, 1, v21
	s_mov_b32 s27, exec_lo
	v_add_nc_u32_e32 v22, v36, v19
	v_cmpx_gt_i32_e64 s26, v22
	s_cbranch_execz .LBB21_113
; %bb.94:                               ;   in Loop: Header=BB21_80 Depth=1
	s_clause 0x3
	buffer_load_dword v23, off, s[0:3], 0 offset:24
	buffer_load_dword v24, off, s[0:3], 0 offset:28
	;; [unrolled: 1-line block ×4, first 2 shown]
	v_cmp_gt_i32_e64 s5, s26, v36
	v_mov_b32_e32 v37, v13
	s_mov_b32 s29, 0
	s_waitcnt vmcnt(2)
	v_mul_f64 v[0:1], v[23:24], v[23:24]
	s_waitcnt vmcnt(0)
	v_fma_f64 v[0:1], v[25:26], v[25:26], v[0:1]
	v_div_scale_f64 v[2:3], null, v[0:1], v[0:1], 1.0
	v_rcp_f64_e32 v[4:5], v[2:3]
	v_fma_f64 v[6:7], -v[2:3], v[4:5], 1.0
	v_fma_f64 v[4:5], v[4:5], v[6:7], v[4:5]
	v_fma_f64 v[6:7], -v[2:3], v[4:5], 1.0
	v_fma_f64 v[4:5], v[4:5], v[6:7], v[4:5]
	v_div_scale_f64 v[6:7], vcc_lo, 1.0, v[0:1], 1.0
	v_mul_f64 v[8:9], v[6:7], v[4:5]
	v_fma_f64 v[2:3], -v[2:3], v[8:9], v[6:7]
	v_div_fmas_f64 v[2:3], v[2:3], v[4:5], v[8:9]
	v_div_fixup_f64 v[27:28], v[2:3], v[0:1], 1.0
	s_branch .LBB21_96
.LBB21_95:                              ;   in Loop: Header=BB21_96 Depth=2
	s_or_b32 exec_lo, exec_lo, s30
	v_add_nc_u32_e32 v22, 64, v22
	v_add_nc_u32_e32 v37, s14, v37
	v_cmp_le_i32_e32 vcc_lo, s26, v22
	s_or_b32 s29, vcc_lo, s29
	s_andn2_b32 exec_lo, exec_lo, s29
	s_cbranch_execz .LBB21_113
.LBB21_96:                              ;   Parent Loop BB21_80 Depth=1
                                        ; =>  This Loop Header: Depth=2
                                        ;       Child Loop BB21_105 Depth 3
	v_add_nc_u32_e32 v4, v22, v33
	s_and_b32 vcc_lo, exec_lo, s13
	s_cbranch_vccz .LBB21_111
; %bb.97:                               ;   in Loop: Header=BB21_96 Depth=2
	v_add_nc_u32_e32 v0, v22, v33
	s_cbranch_execnz .LBB21_99
.LBB21_98:                              ;   in Loop: Header=BB21_96 Depth=2
	v_add_nc_u32_e32 v0, v22, v31
	v_mad_u64_u32 v[0:1], null, v0, s26, v[21:22]
.LBB21_99:                              ;   in Loop: Header=BB21_96 Depth=2
	v_ashrrev_i32_e32 v1, 31, v0
	v_lshlrev_b64 v[0:1], 4, v[0:1]
	v_add_co_u32 v0, vcc_lo, s16, v0
	v_add_co_ci_u32_e64 v1, null, s17, v1, vcc_lo
	s_and_b32 vcc_lo, exec_lo, s13
	global_load_dwordx4 v[0:3], v[0:1], off
	s_cbranch_vccz .LBB21_112
; %bb.100:                              ;   in Loop: Header=BB21_96 Depth=2
	s_cbranch_execnz .LBB21_102
.LBB21_101:                             ;   in Loop: Header=BB21_96 Depth=2
	v_add_nc_u32_e32 v4, v22, v31
	v_mad_u64_u32 v[4:5], null, v4, s26, v[21:22]
.LBB21_102:                             ;   in Loop: Header=BB21_96 Depth=2
	s_waitcnt vmcnt(0)
	v_mul_f64 v[5:6], v[23:24], v[2:3]
	v_mul_f64 v[7:8], v[23:24], -v[0:1]
	v_fma_f64 v[0:1], v[0:1], v[25:26], v[5:6]
	v_fma_f64 v[2:3], v[2:3], v[25:26], v[7:8]
	v_ashrrev_i32_e32 v5, 31, v4
	v_lshlrev_b64 v[4:5], 4, v[4:5]
	v_add_co_u32 v4, vcc_lo, s16, v4
	v_add_co_ci_u32_e64 v5, null, s17, v5, vcc_lo
	v_mul_f64 v[0:1], v[27:28], v[0:1]
	v_mul_f64 v[2:3], v[27:28], v[2:3]
	global_store_dwordx4 v[4:5], v[0:3], off
	s_and_saveexec_b32 s30, s5
	s_cbranch_execz .LBB21_95
; %bb.103:                              ;   in Loop: Header=BB21_96 Depth=2
	v_mov_b32_e32 v38, v37
	v_mov_b32_e32 v39, v12
	;; [unrolled: 1-line block ×3, first 2 shown]
	s_mov_b32 s31, s15
	s_branch .LBB21_105
.LBB21_104:                             ;   in Loop: Header=BB21_105 Depth=3
	s_waitcnt vmcnt(0)
	v_fma_f64 v[8:9], -v[0:1], v[4:5], v[8:9]
	v_fma_f64 v[10:11], -v[2:3], v[4:5], v[10:11]
	v_ashrrev_i32_e32 v30, 31, v29
	v_add_nc_u32_e32 v40, 1, v40
	v_add_nc_u32_e32 v39, 1, v39
	;; [unrolled: 1-line block ×3, first 2 shown]
	s_add_i32 s31, s31, -1
	s_cmp_eq_u32 s31, 0
	v_fma_f64 v[4:5], v[2:3], v[6:7], v[8:9]
	v_fma_f64 v[6:7], -v[0:1], v[6:7], v[10:11]
	v_lshlrev_b64 v[8:9], 4, v[29:30]
	v_add_co_u32 v8, vcc_lo, s16, v8
	v_add_co_ci_u32_e64 v9, null, s17, v9, vcc_lo
	global_store_dwordx4 v[8:9], v[4:7], off
	s_cbranch_scc1 .LBB21_95
.LBB21_105:                             ;   Parent Loop BB21_80 Depth=1
                                        ;     Parent Loop BB21_96 Depth=2
                                        ; =>    This Inner Loop Header: Depth=3
	v_add_nc_u32_e32 v30, v40, v31
	v_mov_b32_e32 v4, v39
	s_andn2_b32 vcc_lo, exec_lo, s13
	s_cbranch_vccnz .LBB21_107
; %bb.106:                              ;   in Loop: Header=BB21_105 Depth=3
	v_mad_u64_u32 v[4:5], null, v30, s26, v[21:22]
.LBB21_107:                             ;   in Loop: Header=BB21_105 Depth=3
	v_ashrrev_i32_e32 v5, 31, v4
	v_mov_b32_e32 v8, v38
	v_lshlrev_b64 v[4:5], 4, v[4:5]
	v_add_co_u32 v4, vcc_lo, s16, v4
	v_add_co_ci_u32_e64 v5, null, s17, v5, vcc_lo
	s_andn2_b32 vcc_lo, exec_lo, s13
	global_load_dwordx4 v[4:7], v[4:5], off
	s_cbranch_vccnz .LBB21_109
; %bb.108:                              ;   in Loop: Header=BB21_105 Depth=3
	v_mad_u64_u32 v[8:9], null, v30, s26, v[22:23]
.LBB21_109:                             ;   in Loop: Header=BB21_105 Depth=3
	v_ashrrev_i32_e32 v9, 31, v8
	v_mov_b32_e32 v29, v38
	v_lshlrev_b64 v[8:9], 4, v[8:9]
	v_add_co_u32 v8, vcc_lo, s16, v8
	v_add_co_ci_u32_e64 v9, null, s17, v9, vcc_lo
	s_andn2_b32 vcc_lo, exec_lo, s13
	global_load_dwordx4 v[8:11], v[8:9], off
	s_cbranch_vccnz .LBB21_104
; %bb.110:                              ;   in Loop: Header=BB21_105 Depth=3
	v_mad_u64_u32 v[29:30], null, v30, s26, v[22:23]
	s_branch .LBB21_104
.LBB21_111:                             ;   in Loop: Header=BB21_96 Depth=2
                                        ; implicit-def: $vgpr0
	s_branch .LBB21_98
.LBB21_112:                             ;   in Loop: Header=BB21_96 Depth=2
                                        ; implicit-def: $vgpr4
	s_branch .LBB21_101
.LBB21_113:                             ;   in Loop: Header=BB21_80 Depth=1
	s_or_b32 exec_lo, exec_lo, s27
	s_andn2_b32 s20, s20, exec_lo
.LBB21_114:                             ;   in Loop: Header=BB21_80 Depth=1
	s_or_b32 exec_lo, exec_lo, s21
	s_andn2_b32 s5, s19, exec_lo
	s_and_b32 s19, s19, exec_lo
	s_or_b32 s19, s5, s19
	s_and_saveexec_b32 s5, s20
	s_cbranch_execz .LBB21_79
; %bb.115:                              ;   in Loop: Header=BB21_80 Depth=1
	v_add_nc_u32_e32 v36, 1, v21
	s_or_b32 s19, s19, exec_lo
	s_branch .LBB21_79
.LBB21_116:
	s_or_b32 exec_lo, exec_lo, s12
	s_andn2_b32 s4, s7, exec_lo
	s_and_b32 s5, s18, exec_lo
	s_or_b32 s7, s4, s5
.LBB21_117:
	s_or_b32 exec_lo, exec_lo, s11
	v_add_nc_u32_e32 v15, 1, v20
	s_mov_b32 s5, exec_lo
	v_cmpx_lt_i32_e64 v15, v34
	s_cbranch_execz .LBB21_141
; %bb.118:
	v_mul_lo_u32 v20, v20, s26
	s_mul_i32 s6, s26, s26
	v_cmp_gt_i32_e64 s4, s26, v19
	v_mul_lo_u32 v0, s6, v15
	s_cmp_lg_u32 s28, 0
	s_mov_b32 s11, 0
	s_cselect_b32 s12, -1, 0
	s_add_i32 s13, s26, 1
	v_mad_u64_u32 v[12:13], null, s26, v20, s[26:27]
	s_add_i32 s14, s26, -1
	v_add3_u32 v21, v0, s26, v19
	s_branch .LBB21_120
.LBB21_119:                             ;   in Loop: Header=BB21_120 Depth=1
	v_add_nc_u32_e32 v15, 1, v15
	v_add_nc_u32_e32 v21, s6, v21
	v_cmp_ge_i32_e32 vcc_lo, v15, v34
	s_or_b32 s11, vcc_lo, s11
	s_andn2_b32 exec_lo, exec_lo, s11
	s_cbranch_execz .LBB21_141
.LBB21_120:                             ; =>This Loop Header: Depth=1
                                        ;     Child Loop BB21_123 Depth 2
                                        ;       Child Loop BB21_126 Depth 3
                                        ;         Child Loop BB21_129 Depth 4
	s_andn2_b32 vcc_lo, exec_lo, s8
	s_cbranch_vccnz .LBB21_119
; %bb.121:                              ;   in Loop: Header=BB21_120 Depth=1
	v_mul_lo_u32 v22, v15, s26
	v_mov_b32_e32 v23, v21
	v_mov_b32_e32 v24, v12
	s_mov_b32 s18, 0
	s_mov_b32 s15, s14
	s_branch .LBB21_123
.LBB21_122:                             ;   in Loop: Header=BB21_123 Depth=2
	s_or_b32 exec_lo, exec_lo, s20
	v_add_nc_u32_e32 v24, s13, v24
	v_add_nc_u32_e32 v23, s26, v23
	s_add_i32 s15, s15, -1
	s_cmp_eq_u32 s19, s26
	s_mov_b32 s18, s19
	s_cbranch_scc1 .LBB21_119
.LBB21_123:                             ;   Parent Loop BB21_120 Depth=1
                                        ; =>  This Loop Header: Depth=2
                                        ;       Child Loop BB21_126 Depth 3
                                        ;         Child Loop BB21_129 Depth 4
	s_add_i32 s19, s18, 1
	s_and_saveexec_b32 s20, s4
	s_cbranch_execz .LBB21_122
; %bb.124:                              ;   in Loop: Header=BB21_123 Depth=2
	v_add_nc_u32_e32 v0, s18, v20
	v_add_nc_u32_e32 v1, s18, v22
	v_mov_b32_e32 v27, v23
	v_mov_b32_e32 v28, v19
	s_cmp_lt_i32 s19, s26
	v_mul_lo_u32 v25, v0, s26
	v_mul_lo_u32 v26, v1, s26
	s_cselect_b32 s21, -1, 0
	s_mov_b32 s27, 0
	s_branch .LBB21_126
.LBB21_125:                             ;   in Loop: Header=BB21_126 Depth=3
	v_add_nc_u32_e32 v28, 64, v28
	v_add_nc_u32_e32 v27, 64, v27
	v_cmp_le_i32_e32 vcc_lo, s26, v28
	s_or_b32 s27, vcc_lo, s27
	s_andn2_b32 exec_lo, exec_lo, s27
	s_cbranch_execz .LBB21_122
.LBB21_126:                             ;   Parent Loop BB21_120 Depth=1
                                        ;     Parent Loop BB21_123 Depth=2
                                        ; =>    This Loop Header: Depth=3
                                        ;         Child Loop BB21_129 Depth 4
	s_andn2_b32 vcc_lo, exec_lo, s21
	s_cbranch_vccnz .LBB21_125
; %bb.127:                              ;   in Loop: Header=BB21_126 Depth=3
	v_add_nc_u32_e32 v0, v28, v22
	v_add_nc_u32_e32 v31, v28, v26
	s_mov_b32 s28, 0
	s_mov_b32 s29, s15
	;; [unrolled: 1-line block ×3, first 2 shown]
	v_mul_lo_u32 v29, v0, s26
	v_add_nc_u32_e32 v30, s18, v29
	s_branch .LBB21_129
.LBB21_128:                             ;   in Loop: Header=BB21_129 Depth=4
	s_waitcnt vmcnt(0)
	v_fma_f64 v[8:9], -v[0:1], v[4:5], v[8:9]
	v_fma_f64 v[4:5], -v[2:3], v[4:5], v[10:11]
	v_ashrrev_i32_e32 v14, 31, v13
	s_add_i32 s29, s29, -1
	s_add_i32 s30, s30, 1
	s_add_i32 s28, s28, s26
	s_cmp_eq_u32 s29, 0
	v_fma_f64 v[2:3], v[2:3], v[6:7], v[8:9]
	v_fma_f64 v[4:5], -v[0:1], v[6:7], v[4:5]
	v_lshlrev_b64 v[0:1], 4, v[13:14]
	v_add_co_u32 v0, vcc_lo, s16, v0
	v_add_co_ci_u32_e64 v1, null, s17, v1, vcc_lo
	global_store_dwordx4 v[0:1], v[2:5], off
	s_cbranch_scc1 .LBB21_125
.LBB21_129:                             ;   Parent Loop BB21_120 Depth=1
                                        ;     Parent Loop BB21_123 Depth=2
                                        ;       Parent Loop BB21_126 Depth=3
                                        ; =>      This Inner Loop Header: Depth=4
	s_and_b32 vcc_lo, exec_lo, s12
	s_cbranch_vccz .LBB21_137
; %bb.130:                              ;   in Loop: Header=BB21_129 Depth=4
	v_add_nc_u32_e32 v0, s30, v25
	v_mov_b32_e32 v2, v30
	s_cbranch_execnz .LBB21_132
.LBB21_131:                             ;   in Loop: Header=BB21_129 Depth=4
	v_add_nc_u32_e32 v0, s28, v24
	v_mov_b32_e32 v2, v31
.LBB21_132:                             ;   in Loop: Header=BB21_129 Depth=4
	v_ashrrev_i32_e32 v1, 31, v0
	v_ashrrev_i32_e32 v3, 31, v2
	v_add_nc_u32_e32 v13, s30, v29
	v_lshlrev_b64 v[0:1], 4, v[0:1]
	v_lshlrev_b64 v[2:3], 4, v[2:3]
	v_add_co_u32 v0, vcc_lo, s16, v0
	v_add_co_ci_u32_e64 v1, null, s17, v1, vcc_lo
	v_add_co_u32 v4, vcc_lo, s16, v2
	v_add_co_ci_u32_e64 v5, null, s17, v3, vcc_lo
	s_clause 0x1
	global_load_dwordx4 v[0:3], v[0:1], off
	global_load_dwordx4 v[4:7], v[4:5], off
	s_and_b32 vcc_lo, exec_lo, s12
	s_cbranch_vccz .LBB21_138
; %bb.133:                              ;   in Loop: Header=BB21_129 Depth=4
	v_add_nc_u32_e32 v8, s30, v29
	v_add_nc_u32_e32 v14, s28, v27
	s_cbranch_execnz .LBB21_135
.LBB21_134:                             ;   in Loop: Header=BB21_129 Depth=4
	v_add_nc_u32_e32 v8, s28, v27
.LBB21_135:                             ;   in Loop: Header=BB21_129 Depth=4
	v_ashrrev_i32_e32 v9, 31, v8
	v_lshlrev_b64 v[8:9], 4, v[8:9]
	v_add_co_u32 v8, vcc_lo, s16, v8
	v_add_co_ci_u32_e64 v9, null, s17, v9, vcc_lo
	s_and_b32 vcc_lo, exec_lo, s12
	global_load_dwordx4 v[8:11], v[8:9], off
	s_cbranch_vccz .LBB21_139
; %bb.136:                              ;   in Loop: Header=BB21_129 Depth=4
	s_cbranch_execnz .LBB21_128
	s_branch .LBB21_140
.LBB21_137:                             ;   in Loop: Header=BB21_129 Depth=4
                                        ; implicit-def: $vgpr0
	v_mov_b32_e32 v2, v30
	s_branch .LBB21_131
.LBB21_138:                             ;   in Loop: Header=BB21_129 Depth=4
                                        ; implicit-def: $vgpr8
	v_add_nc_u32_e32 v14, s28, v27
	s_branch .LBB21_134
.LBB21_139:                             ;   in Loop: Header=BB21_129 Depth=4
                                        ; implicit-def: $vgpr13
.LBB21_140:                             ;   in Loop: Header=BB21_129 Depth=4
	v_mov_b32_e32 v13, v14
	s_branch .LBB21_128
.LBB21_141:
	s_or_b32 exec_lo, exec_lo, s5
	s_orn2_b32 s6, s7, exec_lo
.LBB21_142:
	s_or_b32 exec_lo, exec_lo, s9
	v_cmp_eq_u32_e32 vcc_lo, 0, v19
	s_and_b32 exec_lo, exec_lo, vcc_lo
	s_cbranch_execz .LBB21_148
; %bb.143:
	v_add_co_u32 v0, vcc_lo, s24, v17
	v_add_co_ci_u32_e64 v1, null, s25, v18, vcc_lo
	v_mov_b32_e32 v2, 1
	s_waitcnt_vscnt null, 0x0
	global_store_dword v[0:1], v2, off
	s_and_b32 exec_lo, exec_lo, s6
	s_cbranch_execz .LBB21_148
; %bb.144:
	v_add_nc_u32_e32 v0, s10, v16
	s_mov_b32 s5, exec_lo
	s_brev_b32 s4, -2
.LBB21_145:                             ; =>This Inner Loop Header: Depth=1
	s_ff1_i32_b32 s6, s5
	v_readlane_b32 s7, v0, s6
	s_lshl_b32 s6, 1, s6
	s_andn2_b32 s5, s5, s6
	s_min_i32 s4, s4, s7
	s_cmp_lg_u32 s5, 0
	s_cbranch_scc1 .LBB21_145
; %bb.146:
	v_mbcnt_lo_u32_b32 v0, exec_lo, 0
	s_mov_b32 s5, exec_lo
	v_cmpx_eq_u32_e32 0, v0
	s_xor_b32 s5, exec_lo, s5
	s_cbranch_execz .LBB21_148
; %bb.147:
	v_mov_b32_e32 v0, 0
	v_mov_b32_e32 v1, s4
	global_atomic_smin v0, v1, s[22:23]
.LBB21_148:
	s_endpgm
	.section	.rodata,"a",@progbits
	.p2align	6, 0x0
	.amdhsa_kernel _ZN9rocsparseL15bsrilu0_generalILj128ELj64ELb1E21rocsparse_complex_numIdEEEv20rocsparse_direction_iPKiS5_PT2_S5_iPiS5_S8_21rocsparse_index_base_imNS_24const_host_device_scalarIfEENSA_IdEENSA_IS6_EEb
		.amdhsa_group_segment_fixed_size 0
		.amdhsa_private_segment_fixed_size 48
		.amdhsa_kernarg_size 124
		.amdhsa_user_sgpr_count 8
		.amdhsa_user_sgpr_private_segment_buffer 1
		.amdhsa_user_sgpr_dispatch_ptr 0
		.amdhsa_user_sgpr_queue_ptr 0
		.amdhsa_user_sgpr_kernarg_segment_ptr 1
		.amdhsa_user_sgpr_dispatch_id 0
		.amdhsa_user_sgpr_flat_scratch_init 1
		.amdhsa_user_sgpr_private_segment_size 0
		.amdhsa_wavefront_size32 1
		.amdhsa_uses_dynamic_stack 0
		.amdhsa_system_sgpr_private_segment_wavefront_offset 1
		.amdhsa_system_sgpr_workgroup_id_x 1
		.amdhsa_system_sgpr_workgroup_id_y 0
		.amdhsa_system_sgpr_workgroup_id_z 0
		.amdhsa_system_sgpr_workgroup_info 0
		.amdhsa_system_vgpr_workitem_id 0
		.amdhsa_next_free_vgpr 50
		.amdhsa_next_free_sgpr 47
		.amdhsa_reserve_vcc 1
		.amdhsa_reserve_flat_scratch 1
		.amdhsa_float_round_mode_32 0
		.amdhsa_float_round_mode_16_64 0
		.amdhsa_float_denorm_mode_32 3
		.amdhsa_float_denorm_mode_16_64 3
		.amdhsa_dx10_clamp 1
		.amdhsa_ieee_mode 1
		.amdhsa_fp16_overflow 0
		.amdhsa_workgroup_processor_mode 1
		.amdhsa_memory_ordered 1
		.amdhsa_forward_progress 1
		.amdhsa_shared_vgpr_count 0
		.amdhsa_exception_fp_ieee_invalid_op 0
		.amdhsa_exception_fp_denorm_src 0
		.amdhsa_exception_fp_ieee_div_zero 0
		.amdhsa_exception_fp_ieee_overflow 0
		.amdhsa_exception_fp_ieee_underflow 0
		.amdhsa_exception_fp_ieee_inexact 0
		.amdhsa_exception_int_div_zero 0
	.end_amdhsa_kernel
	.section	.text._ZN9rocsparseL15bsrilu0_generalILj128ELj64ELb1E21rocsparse_complex_numIdEEEv20rocsparse_direction_iPKiS5_PT2_S5_iPiS5_S8_21rocsparse_index_base_imNS_24const_host_device_scalarIfEENSA_IdEENSA_IS6_EEb,"axG",@progbits,_ZN9rocsparseL15bsrilu0_generalILj128ELj64ELb1E21rocsparse_complex_numIdEEEv20rocsparse_direction_iPKiS5_PT2_S5_iPiS5_S8_21rocsparse_index_base_imNS_24const_host_device_scalarIfEENSA_IdEENSA_IS6_EEb,comdat
.Lfunc_end21:
	.size	_ZN9rocsparseL15bsrilu0_generalILj128ELj64ELb1E21rocsparse_complex_numIdEEEv20rocsparse_direction_iPKiS5_PT2_S5_iPiS5_S8_21rocsparse_index_base_imNS_24const_host_device_scalarIfEENSA_IdEENSA_IS6_EEb, .Lfunc_end21-_ZN9rocsparseL15bsrilu0_generalILj128ELj64ELb1E21rocsparse_complex_numIdEEEv20rocsparse_direction_iPKiS5_PT2_S5_iPiS5_S8_21rocsparse_index_base_imNS_24const_host_device_scalarIfEENSA_IdEENSA_IS6_EEb
                                        ; -- End function
	.set _ZN9rocsparseL15bsrilu0_generalILj128ELj64ELb1E21rocsparse_complex_numIdEEEv20rocsparse_direction_iPKiS5_PT2_S5_iPiS5_S8_21rocsparse_index_base_imNS_24const_host_device_scalarIfEENSA_IdEENSA_IS6_EEb.num_vgpr, 50
	.set _ZN9rocsparseL15bsrilu0_generalILj128ELj64ELb1E21rocsparse_complex_numIdEEEv20rocsparse_direction_iPKiS5_PT2_S5_iPiS5_S8_21rocsparse_index_base_imNS_24const_host_device_scalarIfEENSA_IdEENSA_IS6_EEb.num_agpr, 0
	.set _ZN9rocsparseL15bsrilu0_generalILj128ELj64ELb1E21rocsparse_complex_numIdEEEv20rocsparse_direction_iPKiS5_PT2_S5_iPiS5_S8_21rocsparse_index_base_imNS_24const_host_device_scalarIfEENSA_IdEENSA_IS6_EEb.numbered_sgpr, 47
	.set _ZN9rocsparseL15bsrilu0_generalILj128ELj64ELb1E21rocsparse_complex_numIdEEEv20rocsparse_direction_iPKiS5_PT2_S5_iPiS5_S8_21rocsparse_index_base_imNS_24const_host_device_scalarIfEENSA_IdEENSA_IS6_EEb.num_named_barrier, 0
	.set _ZN9rocsparseL15bsrilu0_generalILj128ELj64ELb1E21rocsparse_complex_numIdEEEv20rocsparse_direction_iPKiS5_PT2_S5_iPiS5_S8_21rocsparse_index_base_imNS_24const_host_device_scalarIfEENSA_IdEENSA_IS6_EEb.private_seg_size, 48
	.set _ZN9rocsparseL15bsrilu0_generalILj128ELj64ELb1E21rocsparse_complex_numIdEEEv20rocsparse_direction_iPKiS5_PT2_S5_iPiS5_S8_21rocsparse_index_base_imNS_24const_host_device_scalarIfEENSA_IdEENSA_IS6_EEb.uses_vcc, 1
	.set _ZN9rocsparseL15bsrilu0_generalILj128ELj64ELb1E21rocsparse_complex_numIdEEEv20rocsparse_direction_iPKiS5_PT2_S5_iPiS5_S8_21rocsparse_index_base_imNS_24const_host_device_scalarIfEENSA_IdEENSA_IS6_EEb.uses_flat_scratch, 1
	.set _ZN9rocsparseL15bsrilu0_generalILj128ELj64ELb1E21rocsparse_complex_numIdEEEv20rocsparse_direction_iPKiS5_PT2_S5_iPiS5_S8_21rocsparse_index_base_imNS_24const_host_device_scalarIfEENSA_IdEENSA_IS6_EEb.has_dyn_sized_stack, 0
	.set _ZN9rocsparseL15bsrilu0_generalILj128ELj64ELb1E21rocsparse_complex_numIdEEEv20rocsparse_direction_iPKiS5_PT2_S5_iPiS5_S8_21rocsparse_index_base_imNS_24const_host_device_scalarIfEENSA_IdEENSA_IS6_EEb.has_recursion, 0
	.set _ZN9rocsparseL15bsrilu0_generalILj128ELj64ELb1E21rocsparse_complex_numIdEEEv20rocsparse_direction_iPKiS5_PT2_S5_iPiS5_S8_21rocsparse_index_base_imNS_24const_host_device_scalarIfEENSA_IdEENSA_IS6_EEb.has_indirect_call, 0
	.section	.AMDGPU.csdata,"",@progbits
; Kernel info:
; codeLenInByte = 5284
; TotalNumSgprs: 49
; NumVgprs: 50
; ScratchSize: 48
; MemoryBound: 0
; FloatMode: 240
; IeeeMode: 1
; LDSByteSize: 0 bytes/workgroup (compile time only)
; SGPRBlocks: 0
; VGPRBlocks: 6
; NumSGPRsForWavesPerEU: 49
; NumVGPRsForWavesPerEU: 50
; Occupancy: 16
; WaveLimiterHint : 1
; COMPUTE_PGM_RSRC2:SCRATCH_EN: 1
; COMPUTE_PGM_RSRC2:USER_SGPR: 8
; COMPUTE_PGM_RSRC2:TRAP_HANDLER: 0
; COMPUTE_PGM_RSRC2:TGID_X_EN: 1
; COMPUTE_PGM_RSRC2:TGID_Y_EN: 0
; COMPUTE_PGM_RSRC2:TGID_Z_EN: 0
; COMPUTE_PGM_RSRC2:TIDIG_COMP_CNT: 0
	.section	.text._ZN9rocsparseL15bsrilu0_generalILj128ELj32ELb0E21rocsparse_complex_numIdEEEv20rocsparse_direction_iPKiS5_PT2_S5_iPiS5_S8_21rocsparse_index_base_imNS_24const_host_device_scalarIfEENSA_IdEENSA_IS6_EEb,"axG",@progbits,_ZN9rocsparseL15bsrilu0_generalILj128ELj32ELb0E21rocsparse_complex_numIdEEEv20rocsparse_direction_iPKiS5_PT2_S5_iPiS5_S8_21rocsparse_index_base_imNS_24const_host_device_scalarIfEENSA_IdEENSA_IS6_EEb,comdat
	.globl	_ZN9rocsparseL15bsrilu0_generalILj128ELj32ELb0E21rocsparse_complex_numIdEEEv20rocsparse_direction_iPKiS5_PT2_S5_iPiS5_S8_21rocsparse_index_base_imNS_24const_host_device_scalarIfEENSA_IdEENSA_IS6_EEb ; -- Begin function _ZN9rocsparseL15bsrilu0_generalILj128ELj32ELb0E21rocsparse_complex_numIdEEEv20rocsparse_direction_iPKiS5_PT2_S5_iPiS5_S8_21rocsparse_index_base_imNS_24const_host_device_scalarIfEENSA_IdEENSA_IS6_EEb
	.p2align	8
	.type	_ZN9rocsparseL15bsrilu0_generalILj128ELj32ELb0E21rocsparse_complex_numIdEEEv20rocsparse_direction_iPKiS5_PT2_S5_iPiS5_S8_21rocsparse_index_base_imNS_24const_host_device_scalarIfEENSA_IdEENSA_IS6_EEb,@function
_ZN9rocsparseL15bsrilu0_generalILj128ELj32ELb0E21rocsparse_complex_numIdEEEv20rocsparse_direction_iPKiS5_PT2_S5_iPiS5_S8_21rocsparse_index_base_imNS_24const_host_device_scalarIfEENSA_IdEENSA_IS6_EEb: ; @_ZN9rocsparseL15bsrilu0_generalILj128ELj32ELb0E21rocsparse_complex_numIdEEEv20rocsparse_direction_iPKiS5_PT2_S5_iPiS5_S8_21rocsparse_index_base_imNS_24const_host_device_scalarIfEENSA_IdEENSA_IS6_EEb
; %bb.0:
	s_add_u32 s6, s6, s9
	s_addc_u32 s7, s7, 0
	s_setreg_b32 hwreg(HW_REG_FLAT_SCR_LO), s6
	s_setreg_b32 hwreg(HW_REG_FLAT_SCR_HI), s7
	s_add_u32 s0, s0, s9
	s_clause 0x3
	s_load_dword s9, s[4:5], 0x78
	s_load_dwordx2 s[10:11], s[4:5], 0x48
	s_load_dwordx8 s[20:27], s[4:5], 0x50
	s_load_dwordx2 s[6:7], s[4:5], 0x70
	s_addc_u32 s1, s1, 0
	s_waitcnt lgkmcnt(0)
	s_bitcmp1_b32 s9, 0
	s_cselect_b32 s9, -1, 0
	s_cmp_eq_u32 s11, 0
	v_mov_b32_e32 v1, s27
	s_cselect_b32 s15, -1, 0
	s_cmp_lg_u32 s11, 0
	v_mov_b32_e32 v2, s26
	s_cselect_b32 s11, -1, 0
	s_or_b32 s16, s15, s9
	buffer_store_dword v1, off, s[0:3], 0 offset:36
	s_xor_b32 s14, s16, -1
	s_and_b32 s12, s15, exec_lo
	s_cselect_b32 s13, 0, s25
	s_cselect_b32 s12, 0, s24
	s_and_b32 vcc_lo, exec_lo, s16
	buffer_store_dword v2, off, s[0:3], 0 offset:32
	s_cbranch_vccnz .LBB22_2
; %bb.1:
	s_load_dword s12, s[22:23], 0x0
	s_waitcnt lgkmcnt(0)
	v_mov_b32_e32 v36, s12
	s_mov_b64 s[12:13], s[24:25]
	v_mov_b32_e32 v23, s13
	v_mov_b32_e32 v22, s12
	s_andn2_b32 vcc_lo, exec_lo, s14
	s_cbranch_vccz .LBB22_3
	s_branch .LBB22_4
.LBB22_2:
	v_cndmask_b32_e64 v36, s22, 0, s15
	v_mov_b32_e32 v23, s13
	v_mov_b32_e32 v22, s12
	s_andn2_b32 vcc_lo, exec_lo, s14
	s_cbranch_vccnz .LBB22_4
.LBB22_3:
	v_mov_b32_e32 v1, s24
	v_mov_b32_e32 v2, s25
	flat_load_dwordx2 v[22:23], v[1:2]
.LBB22_4:
	v_mov_b32_e32 v1, 0
	v_mov_b32_e32 v3, 0
	v_cndmask_b32_e64 v35, 0, 1, s11
	v_mov_b32_e32 v2, 0
	v_mov_b32_e32 v4, 0
	s_andn2_b32 vcc_lo, exec_lo, s11
	s_cbranch_vccnz .LBB22_7
; %bb.5:
	s_mov_b64 s[12:13], src_private_base
	s_xor_b32 s11, s9, -1
	s_and_b32 s9, s9, exec_lo
	s_cselect_b32 s9, 32, s26
	s_cselect_b32 s12, s13, s27
	v_mov_b32_e32 v1, s9
	v_mov_b32_e32 v2, s12
	;; [unrolled: 1-line block ×4, first 2 shown]
	s_andn2_b32 vcc_lo, exec_lo, s11
	flat_load_dwordx2 v[1:2], v[1:2]
	s_cbranch_vccnz .LBB22_7
; %bb.6:
	v_mov_b32_e32 v3, s26
	v_mov_b32_e32 v4, s27
	flat_load_dwordx2 v[3:4], v[3:4] offset:8
.LBB22_7:
	s_load_dwordx2 s[28:29], s[4:5], 0x0
	v_lshrrev_b32_e32 v5, 5, v0
	s_lshl_b32 s6, s8, 2
	s_waitcnt vmcnt(0) lgkmcnt(0)
	buffer_store_dword v2, off, s[0:3], 0 offset:4
	buffer_store_dword v1, off, s[0:3], 0
	buffer_store_dword v4, off, s[0:3], 0 offset:12
	buffer_store_dword v3, off, s[0:3], 0 offset:8
	v_and_or_b32 v5, 0x7fffffc, s6, v5
	s_mov_b32 s6, exec_lo
	v_cmpx_gt_i32_e64 s29, v5
	s_cbranch_execz .LBB22_146
; %bb.8:
	s_clause 0x1
	s_load_dwordx4 s[24:27], s[4:5], 0x30
	s_load_dwordx2 s[22:23], s[4:5], 0x40
	v_lshlrev_b32_e32 v1, 2, v5
	s_load_dwordx8 s[12:19], s[4:5], 0x8
	v_and_b32_e32 v19, 31, v0
	s_mov_b32 s6, -1
	s_mov_b32 s9, exec_lo
	s_waitcnt lgkmcnt(0)
	global_load_dword v16, v1, s[26:27]
	s_waitcnt vmcnt(0)
	v_ashrrev_i32_e32 v17, 31, v16
	v_lshlrev_b64 v[17:18], 2, v[16:17]
	v_add_co_u32 v1, vcc_lo, s18, v17
	v_add_co_ci_u32_e64 v2, null, s19, v18, vcc_lo
	global_load_dword v20, v[1:2], off
	s_waitcnt vmcnt(0)
	v_cmpx_ne_u32_e32 -1, v20
	s_cbranch_execz .LBB22_140
; %bb.9:
	v_add_co_u32 v0, vcc_lo, s12, v17
	v_add_co_ci_u32_e64 v1, null, s13, v18, vcc_lo
	s_load_dword s26, s[4:5], 0x28
	s_mov_b32 s7, 0
	s_mov_b32 s11, exec_lo
	global_load_dwordx2 v[0:1], v[0:1], off
	s_waitcnt vmcnt(0)
	v_subrev_nc_u32_e32 v24, s10, v0
	v_subrev_nc_u32_e32 v34, s10, v1
	v_cmpx_lt_i32_e64 v24, v20
	s_cbranch_execz .LBB22_75
; %bb.10:
	v_add_nc_u32_e32 v26, v24, v19
	s_waitcnt lgkmcnt(0)
	v_mad_u64_u32 v[0:1], null, s26, v24, v[19:20]
	s_cmp_gt_i32 s26, 0
	v_cmp_gt_i32_e64 s4, s26, v19
	v_ashrrev_i32_e32 v27, 31, v26
	v_cmp_le_i32_e64 s5, s26, v19
	v_cmp_lt_i32_e64 s6, v26, v34
	s_cselect_b32 s27, -1, 0
	v_mul_lo_u32 v37, s26, v0
	v_lshlrev_b64 v[1:2], 2, v[26:27]
	s_cmp_lg_u32 s28, 0
	s_mov_b32 s31, 0
	s_cselect_b32 s30, -1, 0
	s_add_i32 s29, s29, 1
	s_mul_i32 s33, s26, s26
	v_add_co_u32 v27, vcc_lo, s14, v1
	v_add_co_ci_u32_e64 v28, null, s15, v2, vcc_lo
	v_add_nc_u32_e32 v38, 1, v37
	s_add_i32 s34, s26, 1
	s_lshl_b32 s35, s26, 5
	s_add_i32 s36, s26, -1
	s_mov_b32 s37, 0
                                        ; implicit-def: $sgpr38
                                        ; implicit-def: $sgpr39
	s_branch .LBB22_13
.LBB22_11:                              ;   in Loop: Header=BB22_13 Depth=1
	s_or_b32 exec_lo, exec_lo, s8
	s_andn2_b32 s8, s39, exec_lo
	s_and_b32 s31, s31, exec_lo
	s_or_b32 s39, s8, s31
.LBB22_12:                              ;   in Loop: Header=BB22_13 Depth=1
	s_or_b32 exec_lo, exec_lo, s40
	v_add_nc_u32_e32 v24, 1, v24
	s_xor_b32 s7, s7, -1
	v_add_nc_u32_e32 v38, s33, v38
	v_add_nc_u32_e32 v37, s33, v37
	s_mov_b32 s31, s39
	v_cmp_ge_i32_e32 vcc_lo, v24, v20
	s_or_b32 s7, s7, vcc_lo
	s_and_b32 s7, exec_lo, s7
	s_or_b32 s37, s7, s37
	s_andn2_b32 s7, s38, exec_lo
	s_and_b32 s8, s39, exec_lo
	s_or_b32 s38, s7, s8
	s_andn2_b32 exec_lo, exec_lo, s37
	s_cbranch_execz .LBB22_74
.LBB22_13:                              ; =>This Loop Header: Depth=1
                                        ;     Child Loop BB22_16 Depth 2
                                        ;     Child Loop BB22_21 Depth 2
                                        ;       Child Loop BB22_26 Depth 3
                                        ;         Child Loop BB22_35 Depth 4
                                        ;     Child Loop BB22_48 Depth 2
                                        ;       Child Loop BB22_53 Depth 3
                                        ;       Child Loop BB22_60 Depth 3
                                        ;         Child Loop BB22_62 Depth 4
                                        ;           Child Loop BB22_64 Depth 5
	v_ashrrev_i32_e32 v25, 31, v24
	s_or_b32 s39, s39, exec_lo
	s_waitcnt lgkmcnt(0)
	v_lshlrev_b64 v[0:1], 2, v[24:25]
	v_add_co_u32 v0, vcc_lo, s14, v0
	v_add_co_ci_u32_e64 v1, null, s15, v1, vcc_lo
	global_load_dword v0, v[0:1], off
	s_waitcnt vmcnt(0)
	v_subrev_nc_u32_e32 v0, s10, v0
	v_ashrrev_i32_e32 v1, 31, v0
	v_lshlrev_b64 v[0:1], 2, v[0:1]
	v_add_co_u32 v2, vcc_lo, s18, v0
	v_add_co_ci_u32_e64 v3, null, s19, v1, vcc_lo
	global_load_dword v40, v[2:3], off
	s_waitcnt vmcnt(0)
	v_cmp_ne_u32_e64 s7, -1, v40
	s_and_saveexec_b32 s40, s7
	s_cbranch_execz .LBB22_12
; %bb.14:                               ;   in Loop: Header=BB22_13 Depth=1
	v_add_co_u32 v2, vcc_lo, s12, v0
	v_add_co_ci_u32_e64 v3, null, s13, v1, vcc_lo
	v_add_co_u32 v0, vcc_lo, s24, v0
	v_add_co_ci_u32_e64 v1, null, s25, v1, vcc_lo
	global_load_dword v41, v[2:3], off offset:4
	global_load_dword v2, v[0:1], off glc dlc
	s_mov_b32 s8, exec_lo
	s_waitcnt vmcnt(0)
	v_cmpx_eq_u32_e32 0, v2
	s_cbranch_execz .LBB22_17
; %bb.15:                               ;   in Loop: Header=BB22_13 Depth=1
	s_mov_b32 s41, 0
.LBB22_16:                              ;   Parent Loop BB22_13 Depth=1
                                        ; =>  This Inner Loop Header: Depth=2
	global_load_dword v2, v[0:1], off glc dlc
	s_waitcnt vmcnt(0)
	v_cmp_ne_u32_e32 vcc_lo, 0, v2
	s_or_b32 s41, vcc_lo, s41
	s_andn2_b32 exec_lo, exec_lo, s41
	s_cbranch_execnz .LBB22_16
.LBB22_17:                              ;   in Loop: Header=BB22_13 Depth=1
	s_or_b32 exec_lo, exec_lo, s8
	v_mul_lo_u32 v39, v24, s26
	s_andn2_b32 vcc_lo, exec_lo, s27
	s_waitcnt_vscnt null, 0x0
	buffer_gl1_inv
	buffer_gl0_inv
	s_cbranch_vccnz .LBB22_44
; %bb.18:                               ;   in Loop: Header=BB22_13 Depth=1
	v_mul_lo_u32 v42, v40, s26
	v_mad_u64_u32 v[29:30], null, s33, v40, 1
	v_mov_b32_e32 v21, 0
	v_mov_b32_e32 v43, v38
	s_mov_b32 s41, 0
	s_mov_b32 s42, s36
	s_branch .LBB22_21
.LBB22_19:                              ;   in Loop: Header=BB22_21 Depth=2
	s_or_b32 exec_lo, exec_lo, s44
	v_mov_b32_e32 v21, v44
.LBB22_20:                              ;   in Loop: Header=BB22_21 Depth=2
	s_or_b32 exec_lo, exec_lo, s43
	v_cmp_eq_u32_e32 vcc_lo, s26, v21
	v_add_nc_u32_e32 v29, s34, v29
	v_add_nc_u32_e32 v43, 1, v43
	s_add_i32 s42, s42, -1
	s_or_b32 s41, vcc_lo, s41
	s_andn2_b32 exec_lo, exec_lo, s41
	s_cbranch_execz .LBB22_43
.LBB22_21:                              ;   Parent Loop BB22_13 Depth=1
                                        ; =>  This Loop Header: Depth=2
                                        ;       Child Loop BB22_26 Depth 3
                                        ;         Child Loop BB22_35 Depth 4
	v_add_nc_u32_e32 v44, 1, v21
	s_and_saveexec_b32 s8, s5
	s_xor_b32 s8, exec_lo, s8
; %bb.22:                               ;   in Loop: Header=BB22_21 Depth=2
	v_add_nc_u32_e32 v21, 1, v21
                                        ; implicit-def: $vgpr44
; %bb.23:                               ;   in Loop: Header=BB22_21 Depth=2
	s_andn2_saveexec_b32 s43, s8
	s_cbranch_execz .LBB22_20
; %bb.24:                               ;   in Loop: Header=BB22_21 Depth=2
	v_add_nc_u32_e32 v0, v21, v42
	v_cmp_gt_i32_e64 s8, s26, v44
	v_mov_b32_e32 v46, v43
	v_mov_b32_e32 v25, v19
	s_mov_b32 s44, 0
	v_mad_u64_u32 v[0:1], null, v0, s26, v[21:22]
	v_ashrrev_i32_e32 v1, 31, v0
	v_lshlrev_b64 v[0:1], 4, v[0:1]
	v_add_co_u32 v0, vcc_lo, s16, v0
	v_add_co_ci_u32_e64 v1, null, s17, v1, vcc_lo
	global_load_dwordx4 v[0:3], v[0:1], off
	s_waitcnt vmcnt(0)
	v_mul_f64 v[4:5], v[2:3], v[2:3]
	v_fma_f64 v[4:5], v[0:1], v[0:1], v[4:5]
	v_div_scale_f64 v[6:7], null, v[4:5], v[4:5], 1.0
	v_rcp_f64_e32 v[8:9], v[6:7]
	v_fma_f64 v[10:11], -v[6:7], v[8:9], 1.0
	v_fma_f64 v[8:9], v[8:9], v[10:11], v[8:9]
	v_fma_f64 v[10:11], -v[6:7], v[8:9], 1.0
	v_fma_f64 v[8:9], v[8:9], v[10:11], v[8:9]
	v_div_scale_f64 v[10:11], vcc_lo, 1.0, v[4:5], 1.0
	v_mul_f64 v[12:13], v[10:11], v[8:9]
	v_fma_f64 v[6:7], -v[6:7], v[12:13], v[10:11]
	v_div_fmas_f64 v[6:7], v[6:7], v[8:9], v[12:13]
	v_div_fixup_f64 v[30:31], v[6:7], v[4:5], 1.0
	v_add_nc_u32_e32 v4, v21, v39
	v_mul_lo_u32 v45, v4, s26
	s_branch .LBB22_26
.LBB22_25:                              ;   in Loop: Header=BB22_26 Depth=3
	s_or_b32 exec_lo, exec_lo, s45
	v_add_nc_u32_e32 v25, 32, v25
	v_add_nc_u32_e32 v46, s35, v46
	v_cmp_le_i32_e32 vcc_lo, s26, v25
	s_or_b32 s44, vcc_lo, s44
	s_andn2_b32 exec_lo, exec_lo, s44
	s_cbranch_execz .LBB22_19
.LBB22_26:                              ;   Parent Loop BB22_13 Depth=1
                                        ;     Parent Loop BB22_21 Depth=2
                                        ; =>    This Loop Header: Depth=3
                                        ;         Child Loop BB22_35 Depth 4
	v_add_nc_u32_e32 v8, v25, v45
	s_and_b32 vcc_lo, exec_lo, s30
	s_cbranch_vccz .LBB22_41
; %bb.27:                               ;   in Loop: Header=BB22_26 Depth=3
	v_add_nc_u32_e32 v4, v25, v45
	v_add_nc_u32_e32 v9, v25, v39
	s_cbranch_execnz .LBB22_29
.LBB22_28:                              ;   in Loop: Header=BB22_26 Depth=3
	v_mad_u64_u32 v[4:5], null, v9, s26, v[21:22]
.LBB22_29:                              ;   in Loop: Header=BB22_26 Depth=3
	v_ashrrev_i32_e32 v5, 31, v4
	v_lshlrev_b64 v[4:5], 4, v[4:5]
	v_add_co_u32 v4, vcc_lo, s16, v4
	v_add_co_ci_u32_e64 v5, null, s17, v5, vcc_lo
	s_and_b32 vcc_lo, exec_lo, s30
	global_load_dwordx4 v[4:7], v[4:5], off
	s_cbranch_vccz .LBB22_42
; %bb.30:                               ;   in Loop: Header=BB22_26 Depth=3
	s_cbranch_execnz .LBB22_32
.LBB22_31:                              ;   in Loop: Header=BB22_26 Depth=3
	v_mad_u64_u32 v[8:9], null, v9, s26, v[21:22]
.LBB22_32:                              ;   in Loop: Header=BB22_26 Depth=3
	s_waitcnt vmcnt(0)
	v_mul_f64 v[9:10], v[2:3], v[6:7]
	v_mul_f64 v[11:12], v[2:3], -v[4:5]
	v_fma_f64 v[4:5], v[4:5], v[0:1], v[9:10]
	v_fma_f64 v[6:7], v[6:7], v[0:1], v[11:12]
	v_ashrrev_i32_e32 v9, 31, v8
	v_lshlrev_b64 v[8:9], 4, v[8:9]
	v_add_co_u32 v8, vcc_lo, s16, v8
	v_add_co_ci_u32_e64 v9, null, s17, v9, vcc_lo
	v_mul_f64 v[4:5], v[30:31], v[4:5]
	v_mul_f64 v[6:7], v[30:31], v[6:7]
	global_store_dwordx4 v[8:9], v[4:7], off
	s_and_saveexec_b32 s45, s8
	s_cbranch_execz .LBB22_25
; %bb.33:                               ;   in Loop: Header=BB22_26 Depth=3
	v_mov_b32_e32 v47, v46
	v_mov_b32_e32 v48, v29
	;; [unrolled: 1-line block ×3, first 2 shown]
	s_mov_b32 s46, s42
	s_branch .LBB22_35
.LBB22_34:                              ;   in Loop: Header=BB22_35 Depth=4
	s_waitcnt vmcnt(0)
	v_fma_f64 v[12:13], -v[4:5], v[8:9], v[12:13]
	v_fma_f64 v[14:15], -v[6:7], v[8:9], v[14:15]
	v_ashrrev_i32_e32 v33, 31, v32
	v_add_nc_u32_e32 v49, 1, v49
	v_add_nc_u32_e32 v48, 1, v48
	;; [unrolled: 1-line block ×3, first 2 shown]
	s_add_i32 s46, s46, -1
	s_cmp_eq_u32 s46, 0
	v_fma_f64 v[8:9], v[6:7], v[10:11], v[12:13]
	v_fma_f64 v[10:11], -v[4:5], v[10:11], v[14:15]
	v_lshlrev_b64 v[12:13], 4, v[32:33]
	v_add_co_u32 v12, vcc_lo, s16, v12
	v_add_co_ci_u32_e64 v13, null, s17, v13, vcc_lo
	global_store_dwordx4 v[12:13], v[8:11], off
	s_cbranch_scc1 .LBB22_25
.LBB22_35:                              ;   Parent Loop BB22_13 Depth=1
                                        ;     Parent Loop BB22_21 Depth=2
                                        ;       Parent Loop BB22_26 Depth=3
                                        ; =>      This Inner Loop Header: Depth=4
	v_mov_b32_e32 v8, v48
	s_andn2_b32 vcc_lo, exec_lo, s30
	s_cbranch_vccnz .LBB22_37
; %bb.36:                               ;   in Loop: Header=BB22_35 Depth=4
	v_add_nc_u32_e32 v8, v49, v42
	v_mad_u64_u32 v[8:9], null, v8, s26, v[21:22]
.LBB22_37:                              ;   in Loop: Header=BB22_35 Depth=4
	v_ashrrev_i32_e32 v9, 31, v8
	v_add_nc_u32_e32 v33, v49, v39
	v_mov_b32_e32 v12, v47
	v_lshlrev_b64 v[8:9], 4, v[8:9]
	v_add_co_u32 v8, vcc_lo, s16, v8
	v_add_co_ci_u32_e64 v9, null, s17, v9, vcc_lo
	s_andn2_b32 vcc_lo, exec_lo, s30
	global_load_dwordx4 v[8:11], v[8:9], off
	s_cbranch_vccnz .LBB22_39
; %bb.38:                               ;   in Loop: Header=BB22_35 Depth=4
	v_mad_u64_u32 v[12:13], null, v33, s26, v[25:26]
.LBB22_39:                              ;   in Loop: Header=BB22_35 Depth=4
	v_ashrrev_i32_e32 v13, 31, v12
	v_mov_b32_e32 v32, v47
	v_lshlrev_b64 v[12:13], 4, v[12:13]
	v_add_co_u32 v12, vcc_lo, s16, v12
	v_add_co_ci_u32_e64 v13, null, s17, v13, vcc_lo
	s_andn2_b32 vcc_lo, exec_lo, s30
	global_load_dwordx4 v[12:15], v[12:13], off
	s_cbranch_vccnz .LBB22_34
; %bb.40:                               ;   in Loop: Header=BB22_35 Depth=4
	v_mad_u64_u32 v[32:33], null, v33, s26, v[25:26]
	s_branch .LBB22_34
.LBB22_41:                              ;   in Loop: Header=BB22_26 Depth=3
                                        ; implicit-def: $vgpr4
	v_add_nc_u32_e32 v9, v25, v39
	s_branch .LBB22_28
.LBB22_42:                              ;   in Loop: Header=BB22_26 Depth=3
                                        ; implicit-def: $vgpr8
	s_branch .LBB22_31
.LBB22_43:                              ;   in Loop: Header=BB22_13 Depth=1
	s_or_b32 exec_lo, exec_lo, s41
.LBB22_44:                              ;   in Loop: Header=BB22_13 Depth=1
	v_subrev_nc_u32_e32 v12, s10, v41
	v_add_nc_u32_e32 v4, 1, v40
	s_mov_b32 s8, exec_lo
	v_cmpx_lt_i32_e64 v4, v12
	s_cbranch_execz .LBB22_11
; %bb.45:                               ;   in Loop: Header=BB22_13 Depth=1
	v_mul_lo_u32 v13, s33, v4
	s_mov_b32 s41, 0
	s_branch .LBB22_48
.LBB22_46:                              ;   in Loop: Header=BB22_48 Depth=2
	s_or_b32 exec_lo, exec_lo, s42
.LBB22_47:                              ;   in Loop: Header=BB22_48 Depth=2
	v_add_nc_u32_e32 v4, 1, v4
	v_add_nc_u32_e32 v13, s33, v13
	v_cmp_ge_i32_e32 vcc_lo, v4, v12
	s_or_b32 s41, vcc_lo, s41
	s_andn2_b32 exec_lo, exec_lo, s41
	s_cbranch_execz .LBB22_11
.LBB22_48:                              ;   Parent Loop BB22_13 Depth=1
                                        ; =>  This Loop Header: Depth=2
                                        ;       Child Loop BB22_53 Depth 3
                                        ;       Child Loop BB22_60 Depth 3
                                        ;         Child Loop BB22_62 Depth 4
                                        ;           Child Loop BB22_64 Depth 5
	v_ashrrev_i32_e32 v5, 31, v4
	s_waitcnt lgkmcnt(0)
	v_lshlrev_b64 v[0:1], 2, v[4:5]
	v_add_co_u32 v0, vcc_lo, s14, v0
	v_add_co_ci_u32_e64 v1, null, s15, v1, vcc_lo
	global_load_dword v0, v[0:1], off
	v_mov_b32_e32 v1, s29
	s_and_saveexec_b32 s42, s6
	s_cbranch_execz .LBB22_50
; %bb.49:                               ;   in Loop: Header=BB22_48 Depth=2
	global_load_dword v1, v[27:28], off
	s_waitcnt vmcnt(0)
	v_subrev_nc_u32_e32 v1, s10, v1
.LBB22_50:                              ;   in Loop: Header=BB22_48 Depth=2
	s_or_b32 exec_lo, exec_lo, s42
	s_waitcnt vmcnt(0)
	v_subrev_nc_u32_e32 v2, s10, v0
	v_mov_b32_e32 v3, v26
	s_mov_b32 s42, exec_lo
	v_cmpx_lt_i32_e64 v1, v2
	s_cbranch_execz .LBB22_56
; %bb.51:                               ;   in Loop: Header=BB22_48 Depth=2
	v_mov_b32_e32 v0, v26
	s_mov_b32 s43, 0
	s_branch .LBB22_53
	.p2align	6
.LBB22_52:                              ;   in Loop: Header=BB22_53 Depth=3
	s_or_b32 exec_lo, exec_lo, s44
	v_cmp_ge_i32_e32 vcc_lo, v1, v2
	v_mov_b32_e32 v0, v3
	s_or_b32 s43, vcc_lo, s43
	s_andn2_b32 exec_lo, exec_lo, s43
	s_cbranch_execz .LBB22_55
.LBB22_53:                              ;   Parent Loop BB22_13 Depth=1
                                        ;     Parent Loop BB22_48 Depth=2
                                        ; =>    This Inner Loop Header: Depth=3
	v_add_nc_u32_e32 v3, 32, v0
	v_mov_b32_e32 v1, s29
	s_mov_b32 s44, exec_lo
	v_cmpx_lt_i32_e64 v3, v34
	s_cbranch_execz .LBB22_52
; %bb.54:                               ;   in Loop: Header=BB22_53 Depth=3
	v_ashrrev_i32_e32 v1, 31, v0
	v_lshlrev_b64 v[0:1], 2, v[0:1]
	v_add_co_u32 v0, vcc_lo, s14, v0
	v_add_co_ci_u32_e64 v1, null, s15, v1, vcc_lo
	global_load_dword v0, v[0:1], off offset:128
	s_waitcnt vmcnt(0)
	v_subrev_nc_u32_e32 v1, s10, v0
	s_branch .LBB22_52
.LBB22_55:                              ;   in Loop: Header=BB22_48 Depth=2
	s_or_b32 exec_lo, exec_lo, s43
.LBB22_56:                              ;   in Loop: Header=BB22_48 Depth=2
	s_or_b32 exec_lo, exec_lo, s42
	v_cmp_eq_u32_e32 vcc_lo, v1, v2
	s_cbranch_vccz .LBB22_47
; %bb.57:                               ;   in Loop: Header=BB22_48 Depth=2
	s_ff1_i32_b32 s42, vcc_lo
	s_lshl_b32 s42, s42, 2
	v_mov_b32_e32 v0, s42
	ds_bpermute_b32 v0, v0, v3
	s_and_saveexec_b32 s42, s4
	s_cbranch_execz .LBB22_46
; %bb.58:                               ;   in Loop: Header=BB22_48 Depth=2
	v_mul_lo_u32 v14, v4, s26
	s_waitcnt lgkmcnt(0)
	v_mul_lo_u32 v15, v0, s26
	v_mov_b32_e32 v21, v37
	v_mov_b32_e32 v5, v19
	s_mov_b32 s43, 0
	s_branch .LBB22_60
.LBB22_59:                              ;   in Loop: Header=BB22_60 Depth=3
	v_add_nc_u32_e32 v5, 32, v5
	v_add_nc_u32_e32 v21, s35, v21
	v_cmp_le_i32_e32 vcc_lo, s26, v5
	s_or_b32 s43, vcc_lo, s43
	s_andn2_b32 exec_lo, exec_lo, s43
	s_cbranch_execz .LBB22_46
.LBB22_60:                              ;   Parent Loop BB22_13 Depth=1
                                        ;     Parent Loop BB22_48 Depth=2
                                        ; =>    This Loop Header: Depth=3
                                        ;         Child Loop BB22_62 Depth 4
                                        ;           Child Loop BB22_64 Depth 5
	v_add_nc_u32_e32 v0, v5, v15
	v_mov_b32_e32 v29, v13
	s_mov_b32 s44, 0
	v_mul_lo_u32 v25, v0, s26
	s_branch .LBB22_62
.LBB22_61:                              ;   in Loop: Header=BB22_62 Depth=4
	v_ashrrev_i32_e32 v1, 31, v0
	v_add_nc_u32_e32 v29, 1, v29
	s_add_i32 s44, s44, 1
	s_cmp_eq_u32 s44, s26
	v_lshlrev_b64 v[0:1], 4, v[0:1]
	v_add_co_u32 v10, vcc_lo, s16, v0
	v_add_co_ci_u32_e64 v11, null, s17, v1, vcc_lo
	global_load_dwordx4 v[0:3], v[10:11], off
	s_waitcnt vmcnt(0)
	v_add_f64 v[0:1], v[0:1], -v[6:7]
	v_add_f64 v[2:3], v[2:3], -v[8:9]
	global_store_dwordx4 v[10:11], v[0:3], off
	s_cbranch_scc1 .LBB22_59
.LBB22_62:                              ;   Parent Loop BB22_13 Depth=1
                                        ;     Parent Loop BB22_48 Depth=2
                                        ;       Parent Loop BB22_60 Depth=3
                                        ; =>      This Loop Header: Depth=4
                                        ;           Child Loop BB22_64 Depth 5
	v_add_nc_u32_e32 v0, s44, v14
	v_mov_b32_e32 v6, 0
	v_mov_b32_e32 v8, 0
	;; [unrolled: 1-line block ×4, first 2 shown]
	v_mul_lo_u32 v30, v0, s26
	v_mov_b32_e32 v31, v29
	s_mov_b32 s45, 0
	s_inst_prefetch 0x1
	s_branch .LBB22_64
	.p2align	6
.LBB22_63:                              ;   in Loop: Header=BB22_64 Depth=5
	v_ashrrev_i32_e32 v11, 31, v10
	v_add_nc_u32_e32 v31, s26, v31
	s_add_i32 s45, s45, 1
	s_cmp_eq_u32 s26, s45
	v_lshlrev_b64 v[10:11], 4, v[10:11]
	v_add_co_u32 v10, vcc_lo, s16, v10
	v_add_co_ci_u32_e64 v11, null, s17, v11, vcc_lo
	global_load_dwordx4 v[40:43], v[10:11], off
	s_waitcnt vmcnt(0)
	v_fma_f64 v[6:7], v[0:1], v[40:41], v[6:7]
	v_fma_f64 v[8:9], v[2:3], v[40:41], v[8:9]
	v_fma_f64 v[6:7], -v[2:3], v[42:43], v[6:7]
	v_fma_f64 v[8:9], v[0:1], v[42:43], v[8:9]
	s_cbranch_scc1 .LBB22_70
.LBB22_64:                              ;   Parent Loop BB22_13 Depth=1
                                        ;     Parent Loop BB22_48 Depth=2
                                        ;       Parent Loop BB22_60 Depth=3
                                        ;         Parent Loop BB22_62 Depth=4
                                        ; =>        This Inner Loop Header: Depth=5
	s_and_b32 vcc_lo, exec_lo, s30
	s_cbranch_vccz .LBB22_69
; %bb.65:                               ;   in Loop: Header=BB22_64 Depth=5
	v_add_nc_u32_e32 v0, s45, v39
	v_mad_u64_u32 v[0:1], null, v0, s26, v[5:6]
	s_cbranch_execnz .LBB22_67
.LBB22_66:                              ;   in Loop: Header=BB22_64 Depth=5
	v_add_nc_u32_e32 v0, s45, v21
.LBB22_67:                              ;   in Loop: Header=BB22_64 Depth=5
	v_ashrrev_i32_e32 v1, 31, v0
	v_mov_b32_e32 v10, v31
	v_lshlrev_b64 v[0:1], 4, v[0:1]
	v_add_co_u32 v0, vcc_lo, s16, v0
	v_add_co_ci_u32_e64 v1, null, s17, v1, vcc_lo
	s_andn2_b32 vcc_lo, exec_lo, s30
	global_load_dwordx4 v[0:3], v[0:1], off
	s_cbranch_vccnz .LBB22_63
; %bb.68:                               ;   in Loop: Header=BB22_64 Depth=5
	v_add_nc_u32_e32 v10, s45, v30
	s_branch .LBB22_63
.LBB22_69:                              ;   in Loop: Header=BB22_64 Depth=5
                                        ; implicit-def: $vgpr0
	s_branch .LBB22_66
.LBB22_70:                              ;   in Loop: Header=BB22_62 Depth=4
	s_inst_prefetch 0x2
	s_and_b32 vcc_lo, exec_lo, s30
	s_cbranch_vccz .LBB22_72
; %bb.71:                               ;   in Loop: Header=BB22_62 Depth=4
	v_add_nc_u32_e32 v0, s44, v15
	v_mad_u64_u32 v[0:1], null, v0, s26, v[5:6]
	s_cbranch_execnz .LBB22_61
	s_branch .LBB22_73
.LBB22_72:                              ;   in Loop: Header=BB22_62 Depth=4
                                        ; implicit-def: $vgpr0
.LBB22_73:                              ;   in Loop: Header=BB22_62 Depth=4
	v_add_nc_u32_e32 v0, s44, v25
	s_branch .LBB22_61
.LBB22_74:
	s_or_b32 exec_lo, exec_lo, s37
	s_and_b32 s7, s38, exec_lo
.LBB22_75:
	s_or_b32 exec_lo, exec_lo, s11
	v_ashrrev_i32_e32 v21, 31, v20
	s_waitcnt lgkmcnt(0)
	s_cmp_gt_i32 s26, 0
	s_mov_b32 s12, 0
	s_cselect_b32 s8, -1, 0
	v_lshlrev_b64 v[0:1], 2, v[20:21]
	v_add_co_u32 v0, vcc_lo, s14, v0
	v_add_co_ci_u32_e64 v1, null, s15, v1, vcc_lo
	global_load_dword v0, v[0:1], off
	s_waitcnt vmcnt(0)
	v_subrev_nc_u32_e32 v0, s10, v0
	v_cmp_eq_u32_e32 vcc_lo, v0, v16
	s_and_b32 s4, s8, vcc_lo
	s_and_saveexec_b32 s11, s4
	s_cbranch_execz .LBB22_115
; %bb.76:
	v_cvt_f64_f32_e32 v[0:1], v36
	v_mul_lo_u32 v31, v20, s26
	s_cmp_eq_u64 s[20:21], 8
	s_mul_i32 s5, s26, s26
	s_cselect_b32 vcc_lo, -1, 0
	s_cmp_lg_u32 s28, 0
	v_mad_u64_u32 v[12:13], null, v20, s5, 1
	s_cselect_b32 s13, -1, 0
	v_add_nc_u32_e32 v2, v31, v19
	s_add_i32 s6, s26, 1
	v_cmp_eq_u32_e64 s4, 0, v19
	v_mov_b32_e32 v21, 0
	v_mov_b32_e32 v32, 0
	v_mad_u64_u32 v[13:14], null, s26, v2, s[6:7]
	s_lshl_b32 s14, s26, 5
	s_add_i32 s15, s26, -1
	s_mov_b32 s19, s7
                                        ; implicit-def: $sgpr18
	v_cndmask_b32_e32 v15, v1, v23, vcc_lo
	v_cndmask_b32_e32 v14, v0, v22, vcc_lo
	s_branch .LBB22_78
.LBB22_77:                              ;   in Loop: Header=BB22_78 Depth=1
	s_or_b32 exec_lo, exec_lo, s5
	v_cmp_eq_u32_e32 vcc_lo, s26, v36
	s_add_i32 s15, s15, -1
	v_add_nc_u32_e32 v12, s6, v12
	v_add_nc_u32_e32 v13, s6, v13
	v_mov_b32_e32 v21, v36
	s_or_b32 s12, vcc_lo, s12
	s_andn2_b32 s5, s18, exec_lo
	s_and_b32 s18, s19, exec_lo
	s_or_b32 s18, s5, s18
	s_andn2_b32 exec_lo, exec_lo, s12
	s_cbranch_execz .LBB22_114
.LBB22_78:                              ; =>This Loop Header: Depth=1
                                        ;     Child Loop BB22_94 Depth 2
                                        ;       Child Loop BB22_103 Depth 3
	v_add_nc_u32_e32 v0, v21, v31
	s_mov_b32 s20, 0
	s_mov_b32 s21, 0
	s_mov_b32 s5, -1
	v_mul_lo_u32 v33, v0, s26
	v_add_nc_u32_e32 v0, v33, v21
	v_ashrrev_i32_e32 v1, 31, v0
	v_lshlrev_b64 v[0:1], 4, v[0:1]
	v_add_co_u32 v4, vcc_lo, s16, v0
	v_add_co_ci_u32_e64 v5, null, s17, v1, vcc_lo
	v_cmp_ne_u32_e32 vcc_lo, 1, v35
	global_load_dwordx4 v[0:3], v[4:5], off
	s_waitcnt vmcnt(0)
	buffer_store_dword v3, off, s[0:3], 0 offset:28
	buffer_store_dword v2, off, s[0:3], 0 offset:24
	;; [unrolled: 1-line block ×4, first 2 shown]
	s_cbranch_vccz .LBB22_81
; %bb.79:                               ;   in Loop: Header=BB22_78 Depth=1
	s_and_b32 vcc_lo, exec_lo, s5
	s_cbranch_vccnz .LBB22_90
.LBB22_80:                              ;   in Loop: Header=BB22_78 Depth=1
                                        ; implicit-def: $vgpr36
	s_and_saveexec_b32 s5, s21
	s_xor_b32 s21, exec_lo, s5
	s_cbranch_execnz .LBB22_91
	s_branch .LBB22_112
.LBB22_81:                              ;   in Loop: Header=BB22_78 Depth=1
	v_cmp_gt_f64_e32 vcc_lo, 0, v[0:1]
	v_xor_b32_e32 v7, 0x80000000, v1
	v_xor_b32_e32 v8, 0x80000000, v3
	v_mov_b32_e32 v6, v0
	s_mov_b32 s5, exec_lo
                                        ; implicit-def: $vgpr10_vgpr11
	v_cndmask_b32_e32 v7, v1, v7, vcc_lo
	v_cmp_gt_f64_e32 vcc_lo, 0, v[2:3]
	v_cndmask_b32_e32 v9, v3, v8, vcc_lo
	v_mov_b32_e32 v8, v2
	v_cmpx_ngt_f64_e32 v[6:7], v[8:9]
	s_xor_b32 s5, exec_lo, s5
	s_cbranch_execz .LBB22_85
; %bb.82:                               ;   in Loop: Header=BB22_78 Depth=1
	v_mov_b32_e32 v10, 0
	v_mov_b32_e32 v11, 0
	s_mov_b32 s21, exec_lo
	v_cmpx_neq_f64_e32 0, v[2:3]
	s_cbranch_execz .LBB22_84
; %bb.83:                               ;   in Loop: Header=BB22_78 Depth=1
	v_div_scale_f64 v[10:11], null, v[8:9], v[8:9], v[6:7]
	v_div_scale_f64 v[26:27], vcc_lo, v[6:7], v[8:9], v[6:7]
	v_rcp_f64_e32 v[22:23], v[10:11]
	v_fma_f64 v[24:25], -v[10:11], v[22:23], 1.0
	v_fma_f64 v[22:23], v[22:23], v[24:25], v[22:23]
	v_fma_f64 v[24:25], -v[10:11], v[22:23], 1.0
	v_fma_f64 v[22:23], v[22:23], v[24:25], v[22:23]
	v_mul_f64 v[24:25], v[26:27], v[22:23]
	v_fma_f64 v[10:11], -v[10:11], v[24:25], v[26:27]
	v_div_fmas_f64 v[10:11], v[10:11], v[22:23], v[24:25]
	v_div_fixup_f64 v[6:7], v[10:11], v[8:9], v[6:7]
	v_fma_f64 v[6:7], v[6:7], v[6:7], 1.0
	v_cmp_gt_f64_e32 vcc_lo, 0x10000000, v[6:7]
	v_cndmask_b32_e64 v10, 0, 0x100, vcc_lo
	v_ldexp_f64 v[6:7], v[6:7], v10
	v_rsq_f64_e32 v[10:11], v[6:7]
	v_mul_f64 v[22:23], v[6:7], v[10:11]
	v_mul_f64 v[10:11], v[10:11], 0.5
	v_fma_f64 v[24:25], -v[10:11], v[22:23], 0.5
	v_fma_f64 v[22:23], v[22:23], v[24:25], v[22:23]
	v_fma_f64 v[10:11], v[10:11], v[24:25], v[10:11]
	v_fma_f64 v[24:25], -v[22:23], v[22:23], v[6:7]
	v_fma_f64 v[22:23], v[24:25], v[10:11], v[22:23]
	v_fma_f64 v[24:25], -v[22:23], v[22:23], v[6:7]
	v_fma_f64 v[10:11], v[24:25], v[10:11], v[22:23]
	v_cndmask_b32_e64 v22, 0, 0xffffff80, vcc_lo
	v_cmp_class_f64_e64 vcc_lo, v[6:7], 0x260
	v_ldexp_f64 v[10:11], v[10:11], v22
	v_cndmask_b32_e32 v7, v11, v7, vcc_lo
	v_cndmask_b32_e32 v6, v10, v6, vcc_lo
	v_mul_f64 v[10:11], v[8:9], v[6:7]
.LBB22_84:                              ;   in Loop: Header=BB22_78 Depth=1
	s_or_b32 exec_lo, exec_lo, s21
                                        ; implicit-def: $vgpr6_vgpr7
                                        ; implicit-def: $vgpr8_vgpr9
.LBB22_85:                              ;   in Loop: Header=BB22_78 Depth=1
	s_andn2_saveexec_b32 s5, s5
	s_cbranch_execz .LBB22_87
; %bb.86:                               ;   in Loop: Header=BB22_78 Depth=1
	v_div_scale_f64 v[10:11], null, v[6:7], v[6:7], v[8:9]
	v_div_scale_f64 v[26:27], vcc_lo, v[8:9], v[6:7], v[8:9]
	v_rcp_f64_e32 v[22:23], v[10:11]
	v_fma_f64 v[24:25], -v[10:11], v[22:23], 1.0
	v_fma_f64 v[22:23], v[22:23], v[24:25], v[22:23]
	v_fma_f64 v[24:25], -v[10:11], v[22:23], 1.0
	v_fma_f64 v[22:23], v[22:23], v[24:25], v[22:23]
	v_mul_f64 v[24:25], v[26:27], v[22:23]
	v_fma_f64 v[10:11], -v[10:11], v[24:25], v[26:27]
	v_div_fmas_f64 v[10:11], v[10:11], v[22:23], v[24:25]
	v_div_fixup_f64 v[8:9], v[10:11], v[6:7], v[8:9]
	v_fma_f64 v[8:9], v[8:9], v[8:9], 1.0
	v_cmp_gt_f64_e32 vcc_lo, 0x10000000, v[8:9]
	v_cndmask_b32_e64 v10, 0, 0x100, vcc_lo
	v_ldexp_f64 v[8:9], v[8:9], v10
	v_rsq_f64_e32 v[10:11], v[8:9]
	v_mul_f64 v[22:23], v[8:9], v[10:11]
	v_mul_f64 v[10:11], v[10:11], 0.5
	v_fma_f64 v[24:25], -v[10:11], v[22:23], 0.5
	v_fma_f64 v[22:23], v[22:23], v[24:25], v[22:23]
	v_fma_f64 v[10:11], v[10:11], v[24:25], v[10:11]
	v_fma_f64 v[24:25], -v[22:23], v[22:23], v[8:9]
	v_fma_f64 v[22:23], v[24:25], v[10:11], v[22:23]
	v_fma_f64 v[24:25], -v[22:23], v[22:23], v[8:9]
	v_fma_f64 v[10:11], v[24:25], v[10:11], v[22:23]
	v_cndmask_b32_e64 v22, 0, 0xffffff80, vcc_lo
	v_cmp_class_f64_e64 vcc_lo, v[8:9], 0x260
	v_ldexp_f64 v[10:11], v[10:11], v22
	v_cndmask_b32_e32 v9, v11, v9, vcc_lo
	v_cndmask_b32_e32 v8, v10, v8, vcc_lo
	v_mul_f64 v[10:11], v[6:7], v[8:9]
.LBB22_87:                              ;   in Loop: Header=BB22_78 Depth=1
	s_or_b32 exec_lo, exec_lo, s5
	v_cmp_ge_f64_e32 vcc_lo, v[14:15], v[10:11]
	v_cndmask_b32_e32 v6, 16, v32, vcc_lo
	s_clause 0x3
	buffer_load_dword v7, v6, s[0:3], 0 offen
	buffer_load_dword v8, v6, s[0:3], 0 offen offset:4
	buffer_load_dword v9, v6, s[0:3], 0 offen offset:8
	;; [unrolled: 1-line block ×3, first 2 shown]
	s_waitcnt vmcnt(3)
	buffer_store_dword v7, off, s[0:3], 0 offset:16
	s_waitcnt vmcnt(2)
	buffer_store_dword v8, off, s[0:3], 0 offset:20
	s_waitcnt vmcnt(1)
	buffer_store_dword v9, off, s[0:3], 0 offset:24
	s_waitcnt vmcnt(0)
	buffer_store_dword v10, off, s[0:3], 0 offset:28
	s_and_saveexec_b32 s5, s4
	s_cbranch_execz .LBB22_89
; %bb.88:                               ;   in Loop: Header=BB22_78 Depth=1
	s_clause 0x3
	buffer_load_dword v7, v6, s[0:3], 0 offen
	buffer_load_dword v8, v6, s[0:3], 0 offen offset:4
	buffer_load_dword v9, v6, s[0:3], 0 offen offset:8
	;; [unrolled: 1-line block ×3, first 2 shown]
	s_waitcnt vmcnt(0)
	global_store_dwordx4 v[4:5], v[7:10], off
.LBB22_89:                              ;   in Loop: Header=BB22_78 Depth=1
	s_or_b32 exec_lo, exec_lo, s5
	s_mov_b32 s21, -1
	s_branch .LBB22_80
.LBB22_90:                              ;   in Loop: Header=BB22_78 Depth=1
	v_cmp_neq_f64_e32 vcc_lo, 0, v[0:1]
	v_cmp_neq_f64_e64 s5, 0, v[2:3]
	s_andn2_b32 s21, s21, exec_lo
	s_mov_b32 s20, -1
	s_or_b32 s5, vcc_lo, s5
	s_and_b32 s5, s5, exec_lo
	s_or_b32 s21, s21, s5
                                        ; implicit-def: $vgpr36
	s_and_saveexec_b32 s5, s21
	s_xor_b32 s21, exec_lo, s5
	s_cbranch_execz .LBB22_112
.LBB22_91:                              ;   in Loop: Header=BB22_78 Depth=1
	v_add_nc_u32_e32 v36, 1, v21
	s_mov_b32 s27, exec_lo
	v_add_nc_u32_e32 v22, v36, v19
	v_cmpx_gt_i32_e64 s26, v22
	s_cbranch_execz .LBB22_111
; %bb.92:                               ;   in Loop: Header=BB22_78 Depth=1
	s_clause 0x3
	buffer_load_dword v23, off, s[0:3], 0 offset:24
	buffer_load_dword v24, off, s[0:3], 0 offset:28
	;; [unrolled: 1-line block ×4, first 2 shown]
	v_cmp_gt_i32_e64 s5, s26, v36
	v_mov_b32_e32 v37, v13
	s_mov_b32 s29, 0
	s_waitcnt vmcnt(2)
	v_mul_f64 v[0:1], v[23:24], v[23:24]
	s_waitcnt vmcnt(0)
	v_fma_f64 v[0:1], v[25:26], v[25:26], v[0:1]
	v_div_scale_f64 v[2:3], null, v[0:1], v[0:1], 1.0
	v_rcp_f64_e32 v[4:5], v[2:3]
	v_fma_f64 v[6:7], -v[2:3], v[4:5], 1.0
	v_fma_f64 v[4:5], v[4:5], v[6:7], v[4:5]
	v_fma_f64 v[6:7], -v[2:3], v[4:5], 1.0
	v_fma_f64 v[4:5], v[4:5], v[6:7], v[4:5]
	v_div_scale_f64 v[6:7], vcc_lo, 1.0, v[0:1], 1.0
	v_mul_f64 v[8:9], v[6:7], v[4:5]
	v_fma_f64 v[2:3], -v[2:3], v[8:9], v[6:7]
	v_div_fmas_f64 v[2:3], v[2:3], v[4:5], v[8:9]
	v_div_fixup_f64 v[27:28], v[2:3], v[0:1], 1.0
	s_branch .LBB22_94
.LBB22_93:                              ;   in Loop: Header=BB22_94 Depth=2
	s_or_b32 exec_lo, exec_lo, s30
	v_add_nc_u32_e32 v22, 32, v22
	v_add_nc_u32_e32 v37, s14, v37
	v_cmp_le_i32_e32 vcc_lo, s26, v22
	s_or_b32 s29, vcc_lo, s29
	s_andn2_b32 exec_lo, exec_lo, s29
	s_cbranch_execz .LBB22_111
.LBB22_94:                              ;   Parent Loop BB22_78 Depth=1
                                        ; =>  This Loop Header: Depth=2
                                        ;       Child Loop BB22_103 Depth 3
	v_add_nc_u32_e32 v4, v22, v33
	s_and_b32 vcc_lo, exec_lo, s13
	s_cbranch_vccz .LBB22_109
; %bb.95:                               ;   in Loop: Header=BB22_94 Depth=2
	v_add_nc_u32_e32 v0, v22, v33
	s_cbranch_execnz .LBB22_97
.LBB22_96:                              ;   in Loop: Header=BB22_94 Depth=2
	v_add_nc_u32_e32 v0, v22, v31
	v_mad_u64_u32 v[0:1], null, v0, s26, v[21:22]
.LBB22_97:                              ;   in Loop: Header=BB22_94 Depth=2
	v_ashrrev_i32_e32 v1, 31, v0
	v_lshlrev_b64 v[0:1], 4, v[0:1]
	v_add_co_u32 v0, vcc_lo, s16, v0
	v_add_co_ci_u32_e64 v1, null, s17, v1, vcc_lo
	s_and_b32 vcc_lo, exec_lo, s13
	global_load_dwordx4 v[0:3], v[0:1], off
	s_cbranch_vccz .LBB22_110
; %bb.98:                               ;   in Loop: Header=BB22_94 Depth=2
	s_cbranch_execnz .LBB22_100
.LBB22_99:                              ;   in Loop: Header=BB22_94 Depth=2
	v_add_nc_u32_e32 v4, v22, v31
	v_mad_u64_u32 v[4:5], null, v4, s26, v[21:22]
.LBB22_100:                             ;   in Loop: Header=BB22_94 Depth=2
	s_waitcnt vmcnt(0)
	v_mul_f64 v[5:6], v[23:24], v[2:3]
	v_mul_f64 v[7:8], v[23:24], -v[0:1]
	v_fma_f64 v[0:1], v[0:1], v[25:26], v[5:6]
	v_fma_f64 v[2:3], v[2:3], v[25:26], v[7:8]
	v_ashrrev_i32_e32 v5, 31, v4
	v_lshlrev_b64 v[4:5], 4, v[4:5]
	v_add_co_u32 v4, vcc_lo, s16, v4
	v_add_co_ci_u32_e64 v5, null, s17, v5, vcc_lo
	v_mul_f64 v[0:1], v[27:28], v[0:1]
	v_mul_f64 v[2:3], v[27:28], v[2:3]
	global_store_dwordx4 v[4:5], v[0:3], off
	s_and_saveexec_b32 s30, s5
	s_cbranch_execz .LBB22_93
; %bb.101:                              ;   in Loop: Header=BB22_94 Depth=2
	v_mov_b32_e32 v38, v37
	v_mov_b32_e32 v39, v12
	;; [unrolled: 1-line block ×3, first 2 shown]
	s_mov_b32 s31, s15
	s_branch .LBB22_103
.LBB22_102:                             ;   in Loop: Header=BB22_103 Depth=3
	s_waitcnt vmcnt(0)
	v_fma_f64 v[8:9], -v[0:1], v[4:5], v[8:9]
	v_fma_f64 v[10:11], -v[2:3], v[4:5], v[10:11]
	v_ashrrev_i32_e32 v30, 31, v29
	v_add_nc_u32_e32 v40, 1, v40
	v_add_nc_u32_e32 v39, 1, v39
	;; [unrolled: 1-line block ×3, first 2 shown]
	s_add_i32 s31, s31, -1
	s_cmp_eq_u32 s31, 0
	v_fma_f64 v[4:5], v[2:3], v[6:7], v[8:9]
	v_fma_f64 v[6:7], -v[0:1], v[6:7], v[10:11]
	v_lshlrev_b64 v[8:9], 4, v[29:30]
	v_add_co_u32 v8, vcc_lo, s16, v8
	v_add_co_ci_u32_e64 v9, null, s17, v9, vcc_lo
	global_store_dwordx4 v[8:9], v[4:7], off
	s_cbranch_scc1 .LBB22_93
.LBB22_103:                             ;   Parent Loop BB22_78 Depth=1
                                        ;     Parent Loop BB22_94 Depth=2
                                        ; =>    This Inner Loop Header: Depth=3
	v_add_nc_u32_e32 v30, v40, v31
	v_mov_b32_e32 v4, v39
	s_andn2_b32 vcc_lo, exec_lo, s13
	s_cbranch_vccnz .LBB22_105
; %bb.104:                              ;   in Loop: Header=BB22_103 Depth=3
	v_mad_u64_u32 v[4:5], null, v30, s26, v[21:22]
.LBB22_105:                             ;   in Loop: Header=BB22_103 Depth=3
	v_ashrrev_i32_e32 v5, 31, v4
	v_mov_b32_e32 v8, v38
	v_lshlrev_b64 v[4:5], 4, v[4:5]
	v_add_co_u32 v4, vcc_lo, s16, v4
	v_add_co_ci_u32_e64 v5, null, s17, v5, vcc_lo
	s_andn2_b32 vcc_lo, exec_lo, s13
	global_load_dwordx4 v[4:7], v[4:5], off
	s_cbranch_vccnz .LBB22_107
; %bb.106:                              ;   in Loop: Header=BB22_103 Depth=3
	v_mad_u64_u32 v[8:9], null, v30, s26, v[22:23]
.LBB22_107:                             ;   in Loop: Header=BB22_103 Depth=3
	v_ashrrev_i32_e32 v9, 31, v8
	v_mov_b32_e32 v29, v38
	v_lshlrev_b64 v[8:9], 4, v[8:9]
	v_add_co_u32 v8, vcc_lo, s16, v8
	v_add_co_ci_u32_e64 v9, null, s17, v9, vcc_lo
	s_andn2_b32 vcc_lo, exec_lo, s13
	global_load_dwordx4 v[8:11], v[8:9], off
	s_cbranch_vccnz .LBB22_102
; %bb.108:                              ;   in Loop: Header=BB22_103 Depth=3
	v_mad_u64_u32 v[29:30], null, v30, s26, v[22:23]
	s_branch .LBB22_102
.LBB22_109:                             ;   in Loop: Header=BB22_94 Depth=2
                                        ; implicit-def: $vgpr0
	s_branch .LBB22_96
.LBB22_110:                             ;   in Loop: Header=BB22_94 Depth=2
                                        ; implicit-def: $vgpr4
	s_branch .LBB22_99
.LBB22_111:                             ;   in Loop: Header=BB22_78 Depth=1
	s_or_b32 exec_lo, exec_lo, s27
	s_andn2_b32 s20, s20, exec_lo
.LBB22_112:                             ;   in Loop: Header=BB22_78 Depth=1
	s_or_b32 exec_lo, exec_lo, s21
	s_andn2_b32 s5, s19, exec_lo
	s_and_b32 s19, s19, exec_lo
	s_or_b32 s19, s5, s19
	s_and_saveexec_b32 s5, s20
	s_cbranch_execz .LBB22_77
; %bb.113:                              ;   in Loop: Header=BB22_78 Depth=1
	v_add_nc_u32_e32 v36, 1, v21
	s_or_b32 s19, s19, exec_lo
	s_branch .LBB22_77
.LBB22_114:
	s_or_b32 exec_lo, exec_lo, s12
	s_andn2_b32 s4, s7, exec_lo
	s_and_b32 s5, s18, exec_lo
	s_or_b32 s7, s4, s5
.LBB22_115:
	s_or_b32 exec_lo, exec_lo, s11
	v_add_nc_u32_e32 v15, 1, v20
	s_mov_b32 s5, exec_lo
	v_cmpx_lt_i32_e64 v15, v34
	s_cbranch_execz .LBB22_139
; %bb.116:
	v_mul_lo_u32 v20, v20, s26
	s_mul_i32 s6, s26, s26
	v_cmp_gt_i32_e64 s4, s26, v19
	v_mul_lo_u32 v0, s6, v15
	s_cmp_lg_u32 s28, 0
	s_mov_b32 s11, 0
	s_cselect_b32 s12, -1, 0
	s_add_i32 s13, s26, 1
	v_mad_u64_u32 v[12:13], null, s26, v20, s[26:27]
	s_add_i32 s14, s26, -1
	v_add3_u32 v21, v0, s26, v19
	s_branch .LBB22_118
.LBB22_117:                             ;   in Loop: Header=BB22_118 Depth=1
	v_add_nc_u32_e32 v15, 1, v15
	v_add_nc_u32_e32 v21, s6, v21
	v_cmp_ge_i32_e32 vcc_lo, v15, v34
	s_or_b32 s11, vcc_lo, s11
	s_andn2_b32 exec_lo, exec_lo, s11
	s_cbranch_execz .LBB22_139
.LBB22_118:                             ; =>This Loop Header: Depth=1
                                        ;     Child Loop BB22_121 Depth 2
                                        ;       Child Loop BB22_124 Depth 3
                                        ;         Child Loop BB22_127 Depth 4
	s_andn2_b32 vcc_lo, exec_lo, s8
	s_cbranch_vccnz .LBB22_117
; %bb.119:                              ;   in Loop: Header=BB22_118 Depth=1
	v_mul_lo_u32 v22, v15, s26
	v_mov_b32_e32 v23, v21
	v_mov_b32_e32 v24, v12
	s_mov_b32 s18, 0
	s_mov_b32 s15, s14
	s_branch .LBB22_121
.LBB22_120:                             ;   in Loop: Header=BB22_121 Depth=2
	s_or_b32 exec_lo, exec_lo, s20
	v_add_nc_u32_e32 v24, s13, v24
	v_add_nc_u32_e32 v23, s26, v23
	s_add_i32 s15, s15, -1
	s_cmp_eq_u32 s19, s26
	s_mov_b32 s18, s19
	s_cbranch_scc1 .LBB22_117
.LBB22_121:                             ;   Parent Loop BB22_118 Depth=1
                                        ; =>  This Loop Header: Depth=2
                                        ;       Child Loop BB22_124 Depth 3
                                        ;         Child Loop BB22_127 Depth 4
	s_add_i32 s19, s18, 1
	s_and_saveexec_b32 s20, s4
	s_cbranch_execz .LBB22_120
; %bb.122:                              ;   in Loop: Header=BB22_121 Depth=2
	v_add_nc_u32_e32 v0, s18, v20
	v_add_nc_u32_e32 v1, s18, v22
	v_mov_b32_e32 v27, v23
	v_mov_b32_e32 v28, v19
	s_cmp_lt_i32 s19, s26
	v_mul_lo_u32 v25, v0, s26
	v_mul_lo_u32 v26, v1, s26
	s_cselect_b32 s21, -1, 0
	s_mov_b32 s27, 0
	s_branch .LBB22_124
.LBB22_123:                             ;   in Loop: Header=BB22_124 Depth=3
	v_add_nc_u32_e32 v28, 32, v28
	v_add_nc_u32_e32 v27, 32, v27
	v_cmp_le_i32_e32 vcc_lo, s26, v28
	s_or_b32 s27, vcc_lo, s27
	s_andn2_b32 exec_lo, exec_lo, s27
	s_cbranch_execz .LBB22_120
.LBB22_124:                             ;   Parent Loop BB22_118 Depth=1
                                        ;     Parent Loop BB22_121 Depth=2
                                        ; =>    This Loop Header: Depth=3
                                        ;         Child Loop BB22_127 Depth 4
	s_andn2_b32 vcc_lo, exec_lo, s21
	s_cbranch_vccnz .LBB22_123
; %bb.125:                              ;   in Loop: Header=BB22_124 Depth=3
	v_add_nc_u32_e32 v0, v28, v22
	v_add_nc_u32_e32 v31, v28, v26
	s_mov_b32 s28, 0
	s_mov_b32 s29, s15
	;; [unrolled: 1-line block ×3, first 2 shown]
	v_mul_lo_u32 v29, v0, s26
	v_add_nc_u32_e32 v30, s18, v29
	s_branch .LBB22_127
.LBB22_126:                             ;   in Loop: Header=BB22_127 Depth=4
	s_waitcnt vmcnt(0)
	v_fma_f64 v[8:9], -v[0:1], v[4:5], v[8:9]
	v_fma_f64 v[4:5], -v[2:3], v[4:5], v[10:11]
	v_ashrrev_i32_e32 v14, 31, v13
	s_add_i32 s29, s29, -1
	s_add_i32 s30, s30, 1
	s_add_i32 s28, s28, s26
	s_cmp_eq_u32 s29, 0
	v_fma_f64 v[2:3], v[2:3], v[6:7], v[8:9]
	v_fma_f64 v[4:5], -v[0:1], v[6:7], v[4:5]
	v_lshlrev_b64 v[0:1], 4, v[13:14]
	v_add_co_u32 v0, vcc_lo, s16, v0
	v_add_co_ci_u32_e64 v1, null, s17, v1, vcc_lo
	global_store_dwordx4 v[0:1], v[2:5], off
	s_cbranch_scc1 .LBB22_123
.LBB22_127:                             ;   Parent Loop BB22_118 Depth=1
                                        ;     Parent Loop BB22_121 Depth=2
                                        ;       Parent Loop BB22_124 Depth=3
                                        ; =>      This Inner Loop Header: Depth=4
	s_and_b32 vcc_lo, exec_lo, s12
	s_cbranch_vccz .LBB22_135
; %bb.128:                              ;   in Loop: Header=BB22_127 Depth=4
	v_add_nc_u32_e32 v0, s30, v25
	v_mov_b32_e32 v2, v30
	s_cbranch_execnz .LBB22_130
.LBB22_129:                             ;   in Loop: Header=BB22_127 Depth=4
	v_add_nc_u32_e32 v0, s28, v24
	v_mov_b32_e32 v2, v31
.LBB22_130:                             ;   in Loop: Header=BB22_127 Depth=4
	v_ashrrev_i32_e32 v1, 31, v0
	v_ashrrev_i32_e32 v3, 31, v2
	v_add_nc_u32_e32 v13, s30, v29
	v_lshlrev_b64 v[0:1], 4, v[0:1]
	v_lshlrev_b64 v[2:3], 4, v[2:3]
	v_add_co_u32 v0, vcc_lo, s16, v0
	v_add_co_ci_u32_e64 v1, null, s17, v1, vcc_lo
	v_add_co_u32 v4, vcc_lo, s16, v2
	v_add_co_ci_u32_e64 v5, null, s17, v3, vcc_lo
	s_clause 0x1
	global_load_dwordx4 v[0:3], v[0:1], off
	global_load_dwordx4 v[4:7], v[4:5], off
	s_and_b32 vcc_lo, exec_lo, s12
	s_cbranch_vccz .LBB22_136
; %bb.131:                              ;   in Loop: Header=BB22_127 Depth=4
	v_add_nc_u32_e32 v8, s30, v29
	v_add_nc_u32_e32 v14, s28, v27
	s_cbranch_execnz .LBB22_133
.LBB22_132:                             ;   in Loop: Header=BB22_127 Depth=4
	v_add_nc_u32_e32 v8, s28, v27
.LBB22_133:                             ;   in Loop: Header=BB22_127 Depth=4
	v_ashrrev_i32_e32 v9, 31, v8
	v_lshlrev_b64 v[8:9], 4, v[8:9]
	v_add_co_u32 v8, vcc_lo, s16, v8
	v_add_co_ci_u32_e64 v9, null, s17, v9, vcc_lo
	s_and_b32 vcc_lo, exec_lo, s12
	global_load_dwordx4 v[8:11], v[8:9], off
	s_cbranch_vccz .LBB22_137
; %bb.134:                              ;   in Loop: Header=BB22_127 Depth=4
	s_cbranch_execnz .LBB22_126
	s_branch .LBB22_138
.LBB22_135:                             ;   in Loop: Header=BB22_127 Depth=4
                                        ; implicit-def: $vgpr0
	v_mov_b32_e32 v2, v30
	s_branch .LBB22_129
.LBB22_136:                             ;   in Loop: Header=BB22_127 Depth=4
                                        ; implicit-def: $vgpr8
	v_add_nc_u32_e32 v14, s28, v27
	s_branch .LBB22_132
.LBB22_137:                             ;   in Loop: Header=BB22_127 Depth=4
                                        ; implicit-def: $vgpr13
.LBB22_138:                             ;   in Loop: Header=BB22_127 Depth=4
	v_mov_b32_e32 v13, v14
	s_branch .LBB22_126
.LBB22_139:
	s_or_b32 exec_lo, exec_lo, s5
	s_orn2_b32 s6, s7, exec_lo
.LBB22_140:
	s_or_b32 exec_lo, exec_lo, s9
	v_cmp_eq_u32_e32 vcc_lo, 0, v19
	s_and_b32 exec_lo, exec_lo, vcc_lo
	s_cbranch_execz .LBB22_146
; %bb.141:
	v_add_co_u32 v0, vcc_lo, s24, v17
	v_add_co_ci_u32_e64 v1, null, s25, v18, vcc_lo
	v_mov_b32_e32 v2, 1
	s_waitcnt_vscnt null, 0x0
	global_store_dword v[0:1], v2, off
	s_and_b32 exec_lo, exec_lo, s6
	s_cbranch_execz .LBB22_146
; %bb.142:
	v_add_nc_u32_e32 v0, s10, v16
	s_mov_b32 s5, exec_lo
	s_brev_b32 s4, -2
.LBB22_143:                             ; =>This Inner Loop Header: Depth=1
	s_ff1_i32_b32 s6, s5
	v_readlane_b32 s7, v0, s6
	s_lshl_b32 s6, 1, s6
	s_andn2_b32 s5, s5, s6
	s_min_i32 s4, s4, s7
	s_cmp_lg_u32 s5, 0
	s_cbranch_scc1 .LBB22_143
; %bb.144:
	v_mbcnt_lo_u32_b32 v0, exec_lo, 0
	s_mov_b32 s5, exec_lo
	v_cmpx_eq_u32_e32 0, v0
	s_xor_b32 s5, exec_lo, s5
	s_cbranch_execz .LBB22_146
; %bb.145:
	v_mov_b32_e32 v0, 0
	v_mov_b32_e32 v1, s4
	global_atomic_smin v0, v1, s[22:23]
.LBB22_146:
	s_endpgm
	.section	.rodata,"a",@progbits
	.p2align	6, 0x0
	.amdhsa_kernel _ZN9rocsparseL15bsrilu0_generalILj128ELj32ELb0E21rocsparse_complex_numIdEEEv20rocsparse_direction_iPKiS5_PT2_S5_iPiS5_S8_21rocsparse_index_base_imNS_24const_host_device_scalarIfEENSA_IdEENSA_IS6_EEb
		.amdhsa_group_segment_fixed_size 0
		.amdhsa_private_segment_fixed_size 48
		.amdhsa_kernarg_size 124
		.amdhsa_user_sgpr_count 8
		.amdhsa_user_sgpr_private_segment_buffer 1
		.amdhsa_user_sgpr_dispatch_ptr 0
		.amdhsa_user_sgpr_queue_ptr 0
		.amdhsa_user_sgpr_kernarg_segment_ptr 1
		.amdhsa_user_sgpr_dispatch_id 0
		.amdhsa_user_sgpr_flat_scratch_init 1
		.amdhsa_user_sgpr_private_segment_size 0
		.amdhsa_wavefront_size32 1
		.amdhsa_uses_dynamic_stack 0
		.amdhsa_system_sgpr_private_segment_wavefront_offset 1
		.amdhsa_system_sgpr_workgroup_id_x 1
		.amdhsa_system_sgpr_workgroup_id_y 0
		.amdhsa_system_sgpr_workgroup_id_z 0
		.amdhsa_system_sgpr_workgroup_info 0
		.amdhsa_system_vgpr_workitem_id 0
		.amdhsa_next_free_vgpr 50
		.amdhsa_next_free_sgpr 47
		.amdhsa_reserve_vcc 1
		.amdhsa_reserve_flat_scratch 1
		.amdhsa_float_round_mode_32 0
		.amdhsa_float_round_mode_16_64 0
		.amdhsa_float_denorm_mode_32 3
		.amdhsa_float_denorm_mode_16_64 3
		.amdhsa_dx10_clamp 1
		.amdhsa_ieee_mode 1
		.amdhsa_fp16_overflow 0
		.amdhsa_workgroup_processor_mode 1
		.amdhsa_memory_ordered 1
		.amdhsa_forward_progress 1
		.amdhsa_shared_vgpr_count 0
		.amdhsa_exception_fp_ieee_invalid_op 0
		.amdhsa_exception_fp_denorm_src 0
		.amdhsa_exception_fp_ieee_div_zero 0
		.amdhsa_exception_fp_ieee_overflow 0
		.amdhsa_exception_fp_ieee_underflow 0
		.amdhsa_exception_fp_ieee_inexact 0
		.amdhsa_exception_int_div_zero 0
	.end_amdhsa_kernel
	.section	.text._ZN9rocsparseL15bsrilu0_generalILj128ELj32ELb0E21rocsparse_complex_numIdEEEv20rocsparse_direction_iPKiS5_PT2_S5_iPiS5_S8_21rocsparse_index_base_imNS_24const_host_device_scalarIfEENSA_IdEENSA_IS6_EEb,"axG",@progbits,_ZN9rocsparseL15bsrilu0_generalILj128ELj32ELb0E21rocsparse_complex_numIdEEEv20rocsparse_direction_iPKiS5_PT2_S5_iPiS5_S8_21rocsparse_index_base_imNS_24const_host_device_scalarIfEENSA_IdEENSA_IS6_EEb,comdat
.Lfunc_end22:
	.size	_ZN9rocsparseL15bsrilu0_generalILj128ELj32ELb0E21rocsparse_complex_numIdEEEv20rocsparse_direction_iPKiS5_PT2_S5_iPiS5_S8_21rocsparse_index_base_imNS_24const_host_device_scalarIfEENSA_IdEENSA_IS6_EEb, .Lfunc_end22-_ZN9rocsparseL15bsrilu0_generalILj128ELj32ELb0E21rocsparse_complex_numIdEEEv20rocsparse_direction_iPKiS5_PT2_S5_iPiS5_S8_21rocsparse_index_base_imNS_24const_host_device_scalarIfEENSA_IdEENSA_IS6_EEb
                                        ; -- End function
	.set _ZN9rocsparseL15bsrilu0_generalILj128ELj32ELb0E21rocsparse_complex_numIdEEEv20rocsparse_direction_iPKiS5_PT2_S5_iPiS5_S8_21rocsparse_index_base_imNS_24const_host_device_scalarIfEENSA_IdEENSA_IS6_EEb.num_vgpr, 50
	.set _ZN9rocsparseL15bsrilu0_generalILj128ELj32ELb0E21rocsparse_complex_numIdEEEv20rocsparse_direction_iPKiS5_PT2_S5_iPiS5_S8_21rocsparse_index_base_imNS_24const_host_device_scalarIfEENSA_IdEENSA_IS6_EEb.num_agpr, 0
	.set _ZN9rocsparseL15bsrilu0_generalILj128ELj32ELb0E21rocsparse_complex_numIdEEEv20rocsparse_direction_iPKiS5_PT2_S5_iPiS5_S8_21rocsparse_index_base_imNS_24const_host_device_scalarIfEENSA_IdEENSA_IS6_EEb.numbered_sgpr, 47
	.set _ZN9rocsparseL15bsrilu0_generalILj128ELj32ELb0E21rocsparse_complex_numIdEEEv20rocsparse_direction_iPKiS5_PT2_S5_iPiS5_S8_21rocsparse_index_base_imNS_24const_host_device_scalarIfEENSA_IdEENSA_IS6_EEb.num_named_barrier, 0
	.set _ZN9rocsparseL15bsrilu0_generalILj128ELj32ELb0E21rocsparse_complex_numIdEEEv20rocsparse_direction_iPKiS5_PT2_S5_iPiS5_S8_21rocsparse_index_base_imNS_24const_host_device_scalarIfEENSA_IdEENSA_IS6_EEb.private_seg_size, 48
	.set _ZN9rocsparseL15bsrilu0_generalILj128ELj32ELb0E21rocsparse_complex_numIdEEEv20rocsparse_direction_iPKiS5_PT2_S5_iPiS5_S8_21rocsparse_index_base_imNS_24const_host_device_scalarIfEENSA_IdEENSA_IS6_EEb.uses_vcc, 1
	.set _ZN9rocsparseL15bsrilu0_generalILj128ELj32ELb0E21rocsparse_complex_numIdEEEv20rocsparse_direction_iPKiS5_PT2_S5_iPiS5_S8_21rocsparse_index_base_imNS_24const_host_device_scalarIfEENSA_IdEENSA_IS6_EEb.uses_flat_scratch, 1
	.set _ZN9rocsparseL15bsrilu0_generalILj128ELj32ELb0E21rocsparse_complex_numIdEEEv20rocsparse_direction_iPKiS5_PT2_S5_iPiS5_S8_21rocsparse_index_base_imNS_24const_host_device_scalarIfEENSA_IdEENSA_IS6_EEb.has_dyn_sized_stack, 0
	.set _ZN9rocsparseL15bsrilu0_generalILj128ELj32ELb0E21rocsparse_complex_numIdEEEv20rocsparse_direction_iPKiS5_PT2_S5_iPiS5_S8_21rocsparse_index_base_imNS_24const_host_device_scalarIfEENSA_IdEENSA_IS6_EEb.has_recursion, 0
	.set _ZN9rocsparseL15bsrilu0_generalILj128ELj32ELb0E21rocsparse_complex_numIdEEEv20rocsparse_direction_iPKiS5_PT2_S5_iPiS5_S8_21rocsparse_index_base_imNS_24const_host_device_scalarIfEENSA_IdEENSA_IS6_EEb.has_indirect_call, 0
	.section	.AMDGPU.csdata,"",@progbits
; Kernel info:
; codeLenInByte = 5220
; TotalNumSgprs: 49
; NumVgprs: 50
; ScratchSize: 48
; MemoryBound: 0
; FloatMode: 240
; IeeeMode: 1
; LDSByteSize: 0 bytes/workgroup (compile time only)
; SGPRBlocks: 0
; VGPRBlocks: 6
; NumSGPRsForWavesPerEU: 49
; NumVGPRsForWavesPerEU: 50
; Occupancy: 16
; WaveLimiterHint : 1
; COMPUTE_PGM_RSRC2:SCRATCH_EN: 1
; COMPUTE_PGM_RSRC2:USER_SGPR: 8
; COMPUTE_PGM_RSRC2:TRAP_HANDLER: 0
; COMPUTE_PGM_RSRC2:TGID_X_EN: 1
; COMPUTE_PGM_RSRC2:TGID_Y_EN: 0
; COMPUTE_PGM_RSRC2:TGID_Z_EN: 0
; COMPUTE_PGM_RSRC2:TIDIG_COMP_CNT: 0
	.section	.text._ZN9rocsparseL11bsrilu0_2_8ILj64ELj64ELj8E21rocsparse_complex_numIdEEEv20rocsparse_direction_iPKiS5_PT2_S5_iPiS5_S8_21rocsparse_index_base_imNS_24const_host_device_scalarIfEENSA_IdEENSA_IS6_EEb,"axG",@progbits,_ZN9rocsparseL11bsrilu0_2_8ILj64ELj64ELj8E21rocsparse_complex_numIdEEEv20rocsparse_direction_iPKiS5_PT2_S5_iPiS5_S8_21rocsparse_index_base_imNS_24const_host_device_scalarIfEENSA_IdEENSA_IS6_EEb,comdat
	.globl	_ZN9rocsparseL11bsrilu0_2_8ILj64ELj64ELj8E21rocsparse_complex_numIdEEEv20rocsparse_direction_iPKiS5_PT2_S5_iPiS5_S8_21rocsparse_index_base_imNS_24const_host_device_scalarIfEENSA_IdEENSA_IS6_EEb ; -- Begin function _ZN9rocsparseL11bsrilu0_2_8ILj64ELj64ELj8E21rocsparse_complex_numIdEEEv20rocsparse_direction_iPKiS5_PT2_S5_iPiS5_S8_21rocsparse_index_base_imNS_24const_host_device_scalarIfEENSA_IdEENSA_IS6_EEb
	.p2align	8
	.type	_ZN9rocsparseL11bsrilu0_2_8ILj64ELj64ELj8E21rocsparse_complex_numIdEEEv20rocsparse_direction_iPKiS5_PT2_S5_iPiS5_S8_21rocsparse_index_base_imNS_24const_host_device_scalarIfEENSA_IdEENSA_IS6_EEb,@function
_ZN9rocsparseL11bsrilu0_2_8ILj64ELj64ELj8E21rocsparse_complex_numIdEEEv20rocsparse_direction_iPKiS5_PT2_S5_iPiS5_S8_21rocsparse_index_base_imNS_24const_host_device_scalarIfEENSA_IdEENSA_IS6_EEb: ; @_ZN9rocsparseL11bsrilu0_2_8ILj64ELj64ELj8E21rocsparse_complex_numIdEEEv20rocsparse_direction_iPKiS5_PT2_S5_iPiS5_S8_21rocsparse_index_base_imNS_24const_host_device_scalarIfEENSA_IdEENSA_IS6_EEb
; %bb.0:
	s_add_u32 s6, s6, s9
	s_addc_u32 s7, s7, 0
	s_setreg_b32 hwreg(HW_REG_FLAT_SCR_LO), s6
	s_setreg_b32 hwreg(HW_REG_FLAT_SCR_HI), s7
	s_add_u32 s0, s0, s9
	s_clause 0x3
	s_load_dword s9, s[4:5], 0x78
	s_load_dwordx2 s[10:11], s[4:5], 0x48
	s_load_dwordx8 s[20:27], s[4:5], 0x50
	s_load_dwordx2 s[6:7], s[4:5], 0x70
	s_addc_u32 s1, s1, 0
	s_waitcnt lgkmcnt(0)
	s_bitcmp1_b32 s9, 0
	s_cselect_b32 s9, -1, 0
	s_cmp_eq_u32 s11, 0
	v_mov_b32_e32 v2, s27
	s_cselect_b32 s15, -1, 0
	s_cmp_lg_u32 s11, 0
	v_mov_b32_e32 v3, s26
	s_cselect_b32 s11, -1, 0
	s_or_b32 s16, s15, s9
	buffer_store_dword v2, off, s[0:3], 0 offset:36
	s_xor_b32 s14, s16, -1
	s_and_b32 s12, s15, exec_lo
	s_cselect_b32 s13, 0, s25
	s_cselect_b32 s12, 0, s24
	s_and_b32 vcc_lo, exec_lo, s16
	buffer_store_dword v3, off, s[0:3], 0 offset:32
	s_cbranch_vccnz .LBB23_2
; %bb.1:
	s_load_dword s12, s[22:23], 0x0
	s_waitcnt lgkmcnt(0)
	v_mov_b32_e32 v22, s12
	s_mov_b64 s[12:13], s[24:25]
	v_mov_b32_e32 v6, s12
	v_mov_b32_e32 v7, s13
	s_andn2_b32 vcc_lo, exec_lo, s14
	s_cbranch_vccz .LBB23_3
	s_branch .LBB23_4
.LBB23_2:
	v_cndmask_b32_e64 v22, s22, 0, s15
	v_mov_b32_e32 v6, s12
	v_mov_b32_e32 v7, s13
	s_andn2_b32 vcc_lo, exec_lo, s14
	s_cbranch_vccnz .LBB23_4
.LBB23_3:
	v_mov_b32_e32 v2, s24
	v_mov_b32_e32 v3, s25
	flat_load_dwordx2 v[6:7], v[2:3]
.LBB23_4:
	v_mov_b32_e32 v2, 0
	v_mov_b32_e32 v4, 0
	v_cndmask_b32_e64 v18, 0, 1, s11
	v_mov_b32_e32 v3, 0
	v_mov_b32_e32 v5, 0
	s_andn2_b32 vcc_lo, exec_lo, s11
	s_cbranch_vccnz .LBB23_7
; %bb.5:
	s_mov_b64 s[12:13], src_private_base
	s_xor_b32 s11, s9, -1
	s_and_b32 s9, s9, exec_lo
	s_cselect_b32 s9, 32, s26
	s_cselect_b32 s12, s13, s27
	v_mov_b32_e32 v2, s9
	v_mov_b32_e32 v3, s12
	;; [unrolled: 1-line block ×4, first 2 shown]
	s_andn2_b32 vcc_lo, exec_lo, s11
	flat_load_dwordx2 v[2:3], v[2:3]
	s_cbranch_vccnz .LBB23_7
; %bb.6:
	v_mov_b32_e32 v4, s26
	v_mov_b32_e32 v5, s27
	flat_load_dwordx2 v[4:5], v[4:5] offset:8
.LBB23_7:
	s_clause 0x1
	s_load_dwordx4 s[24:27], s[4:5], 0x30
	s_load_dwordx2 s[22:23], s[4:5], 0x40
	s_mov_b32 s9, 0
	s_lshl_b64 s[6:7], s[8:9], 2
	s_waitcnt lgkmcnt(0)
	s_add_u32 s6, s26, s6
	s_addc_u32 s7, s27, s7
	s_load_dword s26, s[6:7], 0x0
	s_load_dwordx8 s[12:19], s[4:5], 0x8
	s_waitcnt lgkmcnt(0)
	s_ashr_i32 s27, s26, 31
	s_lshl_b64 s[28:29], s[26:27], 2
	s_add_u32 s6, s18, s28
	s_addc_u32 s7, s19, s29
	s_load_dword s30, s[6:7], 0x0
	s_waitcnt vmcnt(0)
	buffer_store_dword v3, off, s[0:3], 0 offset:4
	buffer_store_dword v2, off, s[0:3], 0
	buffer_store_dword v5, off, s[0:3], 0 offset:12
	buffer_store_dword v4, off, s[0:3], 0 offset:8
	s_waitcnt lgkmcnt(0)
	s_cmp_eq_u32 s30, -1
	s_cbranch_scc1 .LBB23_75
; %bb.8:
	s_add_u32 s6, s12, s28
	s_addc_u32 s7, s13, s29
	s_load_dword s8, s[4:5], 0x28
	s_load_dwordx2 s[36:37], s[6:7], 0x0
	s_load_dwordx2 s[34:35], s[4:5], 0x0
	v_max_u32_e32 v19, v0, v1
	v_mul_u32_u24_e32 v20, 0x90, v1
	v_lshlrev_b32_e32 v21, 4, v0
	v_add_nc_u32_e32 v17, 1, v1
	s_waitcnt lgkmcnt(0)
	v_cmp_gt_u32_e64 s6, s8, v19
	s_sub_i32 s36, s36, s10
	s_sub_i32 s11, s37, s10
	s_cmp_ge_i32 s36, s30
	s_cbranch_scc1 .LBB23_48
; %bb.9:
	v_mad_u32_u24 v23, 0x90, v1, v21
	s_cmp_eq_u32 s34, 0
	v_cmp_eq_u32_e64 s7, 0, v1
	s_cselect_b32 vcc_lo, -1, 0
	s_cmp_gt_i32 s8, 0
	v_add_nc_u32_e32 v24, 0x480, v23
	v_add_nc_u32_e32 v25, s36, v0
	v_cndmask_b32_e32 v8, v1, v0, vcc_lo
	v_cndmask_b32_e32 v9, v0, v1, vcc_lo
	v_mad_u32_u24 v26, 0x90, v1, 0x90
	v_add_nc_u32_e32 v27, 1, v1
	v_add_nc_u32_e32 v28, 0x510, v23
	;; [unrolled: 1-line block ×3, first 2 shown]
	v_mov_b32_e32 v30, 0
	s_cselect_b32 s27, -1, 0
	s_add_u32 s38, s4, 0x80
	s_addc_u32 s39, s5, 0
	s_add_i32 s31, s35, 1
	s_branch .LBB23_12
.LBB23_10:                              ;   in Loop: Header=BB23_12 Depth=1
	s_mov_b32 s9, -1
.LBB23_11:                              ;   in Loop: Header=BB23_12 Depth=1
	s_add_i32 s36, s36, 1
	s_cmp_lt_i32 s36, s30
	s_cselect_b32 s5, -1, 0
	s_and_b32 s4, s4, s5
	s_and_b32 vcc_lo, exec_lo, s4
	s_cbranch_vccz .LBB23_48
.LBB23_12:                              ; =>This Loop Header: Depth=1
                                        ;     Child Loop BB23_16 Depth 2
                                        ;     Child Loop BB23_22 Depth 2
	;; [unrolled: 1-line block ×3, first 2 shown]
                                        ;       Child Loop BB23_37 Depth 3
                                        ;       Child Loop BB23_45 Depth 3
	s_ashr_i32 s37, s36, 31
	v_mov_b32_e32 v2, 0
	s_lshl_b64 s[4:5], s[36:37], 2
	v_mov_b32_e32 v4, 0
	s_add_u32 s4, s14, s4
	s_addc_u32 s5, s15, s5
	v_mov_b32_e32 v3, 0
	global_load_dword v10, v30, s[4:5]
	v_mov_b32_e32 v5, 0
	s_waitcnt vmcnt(0)
	v_readfirstlane_b32 s4, v10
	s_and_saveexec_b32 s5, s6
	s_cbranch_execz .LBB23_14
; %bb.13:                               ;   in Loop: Header=BB23_12 Depth=1
	v_mad_u64_u32 v[2:3], null, s36, s8, v[8:9]
	v_mad_u64_u32 v[2:3], null, v2, s8, v[9:10]
	v_mov_b32_e32 v3, v30
	v_lshlrev_b64 v[2:3], 4, v[2:3]
	v_add_co_u32 v2, vcc_lo, s16, v2
	v_add_co_ci_u32_e64 v3, null, s17, v3, vcc_lo
	global_load_dwordx4 v[2:5], v[2:3], off
.LBB23_14:                              ;   in Loop: Header=BB23_12 Depth=1
	s_or_b32 exec_lo, exec_lo, s5
	s_sub_i32 s4, s4, s10
	s_waitcnt vmcnt(0)
	ds_write_b128 v24, v[2:5]
	s_ashr_i32 s5, s4, 31
	s_lshl_b64 s[40:41], s[4:5], 2
	s_add_u32 s4, s18, s40
	s_addc_u32 s5, s19, s41
	global_load_dword v10, v30, s[4:5]
	s_waitcnt vmcnt(0)
	v_cmp_eq_u32_e32 vcc_lo, -1, v10
	v_readfirstlane_b32 s5, v10
	v_cmp_ne_u32_e64 s4, -1, v10
	s_cbranch_vccnz .LBB23_10
; %bb.15:                               ;   in Loop: Header=BB23_12 Depth=1
	s_add_u32 s42, s12, s40
	s_addc_u32 s43, s13, s41
	s_add_u32 s40, s24, s40
	global_load_dword v2, v30, s[42:43] offset:4
	s_addc_u32 s41, s25, s41
	s_waitcnt vmcnt(0)
	v_readfirstlane_b32 s33, v2
.LBB23_16:                              ;   Parent Loop BB23_12 Depth=1
                                        ; =>  This Inner Loop Header: Depth=2
	global_load_dword v2, v30, s[40:41] glc dlc
	s_waitcnt vmcnt(0)
	v_cmp_eq_u32_e32 vcc_lo, 0, v2
	s_cbranch_vccnz .LBB23_16
; %bb.17:                               ;   in Loop: Header=BB23_12 Depth=1
	v_mov_b32_e32 v2, 0
	v_mov_b32_e32 v3, 0
	s_waitcnt lgkmcnt(0)
	s_waitcnt_vscnt null, 0x0
	buffer_gl1_inv
	buffer_gl0_inv
	v_mov_b32_e32 v5, v3
	v_mov_b32_e32 v4, v2
	s_and_saveexec_b32 s35, s6
	s_cbranch_execz .LBB23_19
; %bb.18:                               ;   in Loop: Header=BB23_12 Depth=1
	v_mad_u64_u32 v[2:3], null, s5, s8, v[8:9]
	v_mad_u64_u32 v[2:3], null, v2, s8, v[9:10]
	v_mov_b32_e32 v3, v30
	v_lshlrev_b64 v[2:3], 4, v[2:3]
	v_add_co_u32 v2, vcc_lo, s16, v2
	v_add_co_ci_u32_e64 v3, null, s17, v3, vcc_lo
	global_load_dwordx4 v[2:5], v[2:3], off
.LBB23_19:                              ;   in Loop: Header=BB23_12 Depth=1
	s_or_b32 exec_lo, exec_lo, s35
	s_andn2_b32 vcc_lo, exec_lo, s27
	s_waitcnt vmcnt(0)
	ds_write_b128 v23, v[2:5]
	s_waitcnt lgkmcnt(0)
	buffer_gl0_inv
	s_cbranch_vccnz .LBB23_26
; %bb.20:                               ;   in Loop: Header=BB23_12 Depth=1
	v_mov_b32_e32 v10, v29
	v_mov_b32_e32 v11, v28
	;; [unrolled: 1-line block ×4, first 2 shown]
	s_mov_b32 s35, 0
	s_mov_b32 s37, s8
	s_branch .LBB23_22
.LBB23_21:                              ;   in Loop: Header=BB23_22 Depth=2
	s_or_b32 exec_lo, exec_lo, s40
	v_add_nc_u32_e32 v13, 0xa0, v13
	v_add_nc_u32_e32 v12, 1, v12
	;; [unrolled: 1-line block ×4, first 2 shown]
	s_add_i32 s37, s37, -1
	s_addk_i32 s35, 0xa0
	s_cmp_eq_u32 s37, 0
	s_waitcnt lgkmcnt(0)
	buffer_gl0_inv
	s_cbranch_scc1 .LBB23_26
.LBB23_22:                              ;   Parent Loop BB23_12 Depth=1
                                        ; =>  This Inner Loop Header: Depth=2
	v_mov_b32_e32 v2, s35
	ds_read_b128 v[2:5], v2
	ds_read_b128 v[31:34], v10
	s_waitcnt lgkmcnt(0)
	buffer_gl0_inv
	v_mul_f64 v[14:15], v[4:5], v[4:5]
	v_fma_f64 v[14:15], v[2:3], v[2:3], v[14:15]
	v_div_scale_f64 v[35:36], null, v[14:15], v[14:15], 1.0
	v_div_scale_f64 v[41:42], vcc_lo, 1.0, v[14:15], 1.0
	v_rcp_f64_e32 v[37:38], v[35:36]
	v_fma_f64 v[39:40], -v[35:36], v[37:38], 1.0
	v_fma_f64 v[37:38], v[37:38], v[39:40], v[37:38]
	v_fma_f64 v[39:40], -v[35:36], v[37:38], 1.0
	v_fma_f64 v[37:38], v[37:38], v[39:40], v[37:38]
	v_mul_f64 v[39:40], v[41:42], v[37:38]
	v_fma_f64 v[35:36], -v[35:36], v[39:40], v[41:42]
	v_mul_f64 v[41:42], v[4:5], v[33:34]
	v_mul_f64 v[4:5], v[4:5], -v[31:32]
	v_div_fmas_f64 v[35:36], v[35:36], v[37:38], v[39:40]
	v_fma_f64 v[31:32], v[31:32], v[2:3], v[41:42]
	v_fma_f64 v[4:5], v[33:34], v[2:3], v[4:5]
	v_div_fixup_f64 v[14:15], v[35:36], v[14:15], 1.0
	v_mul_f64 v[2:3], v[14:15], v[31:32]
	v_mul_f64 v[4:5], v[14:15], v[4:5]
	s_and_saveexec_b32 s40, s7
; %bb.23:                               ;   in Loop: Header=BB23_22 Depth=2
	ds_write_b128 v10, v[2:5]
; %bb.24:                               ;   in Loop: Header=BB23_22 Depth=2
	s_or_b32 exec_lo, exec_lo, s40
	s_mov_b32 s40, exec_lo
	v_cmpx_gt_i32_e64 s8, v12
	s_cbranch_execz .LBB23_21
; %bb.25:                               ;   in Loop: Header=BB23_22 Depth=2
	ds_read_b128 v[31:34], v13
	ds_read_b128 v[35:38], v11
	s_waitcnt lgkmcnt(0)
	v_fma_f64 v[14:15], -v[2:3], v[31:32], v[35:36]
	v_fma_f64 v[35:36], -v[4:5], v[31:32], v[37:38]
	v_fma_f64 v[31:32], v[4:5], v[33:34], v[14:15]
	v_fma_f64 v[33:34], -v[2:3], v[33:34], v[35:36]
	ds_write_b128 v11, v[31:34]
	s_branch .LBB23_21
.LBB23_26:                              ;   in Loop: Header=BB23_12 Depth=1
	s_and_saveexec_b32 s35, s6
	s_cbranch_execz .LBB23_28
; %bb.27:                               ;   in Loop: Header=BB23_12 Depth=1
	v_mad_u64_u32 v[2:3], null, s36, s8, v[8:9]
	v_mad_u64_u32 v[10:11], null, v2, s8, v[9:10]
	ds_read2_b64 v[2:5], v24 offset1:1
	v_mov_b32_e32 v11, v30
	v_lshlrev_b64 v[10:11], 4, v[10:11]
	v_add_co_u32 v10, vcc_lo, s16, v10
	v_add_co_ci_u32_e64 v11, null, s17, v11, vcc_lo
	s_waitcnt lgkmcnt(0)
	global_store_dwordx4 v[10:11], v[2:5], off
.LBB23_28:                              ;   in Loop: Header=BB23_12 Depth=1
	s_or_b32 exec_lo, exec_lo, s35
	s_sub_i32 s33, s33, s10
	s_add_i32 s40, s5, 1
	s_cmp_ge_i32 s40, s33
	s_cbranch_scc1 .LBB23_11
; %bb.29:                               ;   in Loop: Header=BB23_12 Depth=1
	s_load_dword s5, s[38:39], 0xc
	s_waitcnt lgkmcnt(0)
	s_and_b32 s5, s5, 0xffff
	v_mad_u32_u24 v10, v1, s5, v25
	v_ashrrev_i32_e32 v11, 31, v10
	v_cmp_gt_i32_e64 s5, s11, v10
	v_lshlrev_b64 v[2:3], 2, v[10:11]
	v_add_co_u32 v11, vcc_lo, s14, v2
	v_add_co_ci_u32_e64 v12, null, s15, v3, vcc_lo
	s_branch .LBB23_32
.LBB23_30:                              ;   in Loop: Header=BB23_32 Depth=2
	s_or_b32 exec_lo, exec_lo, s35
.LBB23_31:                              ;   in Loop: Header=BB23_32 Depth=2
	s_add_i32 s40, s40, 1
	s_waitcnt_vscnt null, 0x0
	buffer_gl0_inv
	s_cmp_lt_i32 s40, s33
	s_cbranch_scc0 .LBB23_11
.LBB23_32:                              ;   Parent Loop BB23_12 Depth=1
                                        ; =>  This Loop Header: Depth=2
                                        ;       Child Loop BB23_37 Depth 3
                                        ;       Child Loop BB23_45 Depth 3
	s_ashr_i32 s41, s40, 31
	v_mov_b32_e32 v3, s31
	s_lshl_b64 s[42:43], s[40:41], 2
	s_add_u32 s42, s14, s42
	s_addc_u32 s43, s15, s43
	global_load_dword v2, v30, s[42:43]
	s_and_saveexec_b32 s35, s5
	s_cbranch_execz .LBB23_34
; %bb.33:                               ;   in Loop: Header=BB23_32 Depth=2
	global_load_dword v3, v[11:12], off
	s_waitcnt vmcnt(0)
	v_subrev_nc_u32_e32 v3, s10, v3
.LBB23_34:                              ;   in Loop: Header=BB23_32 Depth=2
	s_or_b32 exec_lo, exec_lo, s35
	s_waitcnt vmcnt(0)
	v_subrev_nc_u32_e32 v4, s10, v2
	v_mov_b32_e32 v5, v10
	s_mov_b32 s35, exec_lo
	v_cmpx_lt_i32_e64 v3, v4
	s_cbranch_execz .LBB23_40
; %bb.35:                               ;   in Loop: Header=BB23_32 Depth=2
	v_mov_b32_e32 v2, v10
	s_mov_b32 s37, 0
	s_branch .LBB23_37
	.p2align	6
.LBB23_36:                              ;   in Loop: Header=BB23_37 Depth=3
	s_or_b32 exec_lo, exec_lo, s41
	v_cmp_ge_i32_e32 vcc_lo, v3, v4
	v_mov_b32_e32 v2, v5
	s_or_b32 s37, vcc_lo, s37
	s_andn2_b32 exec_lo, exec_lo, s37
	s_cbranch_execz .LBB23_39
.LBB23_37:                              ;   Parent Loop BB23_12 Depth=1
                                        ;     Parent Loop BB23_32 Depth=2
                                        ; =>    This Inner Loop Header: Depth=3
	v_add_nc_u32_e32 v5, 64, v2
	v_mov_b32_e32 v3, s31
	s_mov_b32 s41, exec_lo
	v_cmpx_gt_i32_e64 s11, v5
	s_cbranch_execz .LBB23_36
; %bb.38:                               ;   in Loop: Header=BB23_37 Depth=3
	v_ashrrev_i32_e32 v3, 31, v2
	v_lshlrev_b64 v[2:3], 2, v[2:3]
	v_add_co_u32 v2, vcc_lo, s14, v2
	v_add_co_ci_u32_e64 v3, null, s15, v3, vcc_lo
	global_load_dword v2, v[2:3], off offset:256
	s_waitcnt vmcnt(0)
	v_subrev_nc_u32_e32 v3, s10, v2
	s_branch .LBB23_36
.LBB23_39:                              ;   in Loop: Header=BB23_32 Depth=2
	s_or_b32 exec_lo, exec_lo, s37
.LBB23_40:                              ;   in Loop: Header=BB23_32 Depth=2
	s_or_b32 exec_lo, exec_lo, s35
	v_cmp_eq_u32_e32 vcc_lo, v3, v4
	s_cbranch_vccz .LBB23_31
; %bb.41:                               ;   in Loop: Header=BB23_32 Depth=2
	s_ff1_i32_b32 s35, vcc_lo
	v_mov_b32_e32 v13, 0
	s_lshl_b32 s35, s35, 2
	v_mov_b32_e32 v14, 0
	v_mov_b32_e32 v2, s35
	ds_bpermute_b32 v31, v2, v5
	v_mov_b32_e32 v4, 0
	v_mov_b32_e32 v2, 0
	;; [unrolled: 1-line block ×4, first 2 shown]
	s_and_saveexec_b32 s35, s6
	s_cbranch_execz .LBB23_43
; %bb.42:                               ;   in Loop: Header=BB23_32 Depth=2
	v_mad_u64_u32 v[2:3], null, s40, s8, v[8:9]
	v_mad_u64_u32 v[2:3], null, v2, s8, v[9:10]
	v_mov_b32_e32 v3, v30
	v_lshlrev_b64 v[2:3], 4, v[2:3]
	v_add_co_u32 v2, vcc_lo, s16, v2
	v_add_co_ci_u32_e64 v3, null, s17, v3, vcc_lo
	global_load_dwordx4 v[2:5], v[2:3], off
.LBB23_43:                              ;   in Loop: Header=BB23_32 Depth=2
	s_or_b32 exec_lo, exec_lo, s35
	v_mov_b32_e32 v15, 0
	v_mov_b32_e32 v16, 0
	s_andn2_b32 vcc_lo, exec_lo, s27
	s_waitcnt vmcnt(0)
	ds_write_b128 v23, v[2:5]
	s_waitcnt lgkmcnt(0)
	s_waitcnt_vscnt null, 0x0
	buffer_gl0_inv
	s_cbranch_vccnz .LBB23_46
; %bb.44:                               ;   in Loop: Header=BB23_32 Depth=2
	v_mov_b32_e32 v13, 0
	v_mov_b32_e32 v15, 0
	;; [unrolled: 1-line block ×6, first 2 shown]
	s_mov_b32 s35, s8
	.p2align	6
.LBB23_45:                              ;   Parent Loop BB23_12 Depth=1
                                        ;     Parent Loop BB23_32 Depth=2
                                        ; =>    This Inner Loop Header: Depth=3
	ds_read_b128 v[32:35], v2
	ds_read_b128 v[36:39], v3
	v_add_nc_u32_e32 v3, 16, v3
	v_add_nc_u32_e32 v2, 0x90, v2
	s_add_i32 s35, s35, -1
	s_cmp_eq_u32 s35, 0
	s_waitcnt lgkmcnt(0)
	v_fma_f64 v[4:5], v[32:33], v[36:37], v[13:14]
	v_fma_f64 v[15:16], v[34:35], v[36:37], v[15:16]
	v_fma_f64 v[13:14], -v[34:35], v[38:39], v[4:5]
	v_fma_f64 v[15:16], v[32:33], v[38:39], v[15:16]
	s_cbranch_scc0 .LBB23_45
.LBB23_46:                              ;   in Loop: Header=BB23_32 Depth=2
	s_and_saveexec_b32 s35, s6
	s_cbranch_execz .LBB23_30
; %bb.47:                               ;   in Loop: Header=BB23_32 Depth=2
	v_mad_u64_u32 v[2:3], null, v31, s8, v[8:9]
	v_mad_u64_u32 v[2:3], null, v2, s8, v[9:10]
	v_mov_b32_e32 v3, v30
	v_lshlrev_b64 v[2:3], 4, v[2:3]
	v_add_co_u32 v31, vcc_lo, s16, v2
	v_add_co_ci_u32_e64 v32, null, s17, v3, vcc_lo
	global_load_dwordx4 v[2:5], v[31:32], off
	s_waitcnt vmcnt(0)
	v_add_f64 v[2:3], v[2:3], -v[13:14]
	v_add_f64 v[4:5], v[4:5], -v[15:16]
	global_store_dwordx4 v[31:32], v[2:5], off
	s_branch .LBB23_30
.LBB23_48:
	s_ashr_i32 s31, s30, 31
	v_mov_b32_e32 v2, 0
	s_lshl_b64 s[4:5], s[30:31], 2
	s_add_u32 s4, s14, s4
	s_addc_u32 s5, s15, s5
	global_load_dword v2, v2, s[4:5]
	s_waitcnt vmcnt(0)
	v_subrev_nc_u32_e32 v2, s10, v2
	v_cmp_ne_u32_e32 vcc_lo, s26, v2
	s_cbranch_vccnz .LBB23_79
; %bb.49:
	v_mov_b32_e32 v4, 0
	v_mov_b32_e32 v5, 0
	;; [unrolled: 1-line block ×3, first 2 shown]
	v_cmp_gt_u32_e64 s4, s8, v19
	v_mov_b32_e32 v3, v5
	s_and_saveexec_b32 s5, s4
	s_cbranch_execz .LBB23_51
; %bb.50:
	s_cmp_eq_u32 s34, 0
	s_cselect_b32 vcc_lo, -1, 0
	v_cndmask_b32_e32 v2, v1, v0, vcc_lo
	v_mad_u64_u32 v[2:3], null, s30, s8, v[2:3]
	v_cndmask_b32_e32 v3, v0, v1, vcc_lo
	v_mad_u64_u32 v[2:3], null, v2, s8, v[3:4]
	v_mov_b32_e32 v3, 0
	v_lshlrev_b64 v[2:3], 4, v[2:3]
	v_add_co_u32 v2, vcc_lo, s16, v2
	v_add_co_ci_u32_e64 v3, null, s17, v3, vcc_lo
	global_load_dwordx4 v[2:5], v[2:3], off
.LBB23_51:
	s_or_b32 exec_lo, exec_lo, s5
	v_mad_u32_u24 v14, 0x90, v1, v21
	s_cmp_lt_i32 s8, 1
	s_waitcnt vmcnt(0)
	ds_write_b128 v14, v[2:5]
	s_waitcnt lgkmcnt(0)
	s_waitcnt_vscnt null, 0x0
	buffer_gl0_inv
	s_cbranch_scc1 .LBB23_76
; %bb.52:
	v_cvt_f64_f32_e32 v[2:3], v22
	v_or_b32_e32 v4, v0, v1
	s_cmp_eq_u64 s[20:21], 8
	v_cmp_eq_u32_e64 s5, 0, v1
	s_cselect_b32 vcc_lo, -1, 0
	v_add3_u32 v15, v20, v21, 0xa0
	v_mad_u32_u24 v16, 0x90, v1, 0x90
	v_add_nc_u32_e32 v22, 1, v0
	v_add_nc_u32_e32 v23, 16, v21
	v_mov_b32_e32 v26, 0
	v_mov_b32_e32 v24, 0
	v_cmp_eq_u32_e64 s6, 0, v4
	v_mov_b32_e32 v25, v17
	s_mov_b32 s12, 0
	s_mov_b32 s13, s8
	v_cndmask_b32_e32 v7, v3, v7, vcc_lo
	v_cndmask_b32_e32 v6, v2, v6, vcc_lo
	s_branch .LBB23_54
.LBB23_53:                              ;   in Loop: Header=BB23_54 Depth=1
	s_or_b32 exec_lo, exec_lo, s14
	v_add_nc_u32_e32 v15, 0xa0, v15
	v_add_nc_u32_e32 v16, 0xa0, v16
	;; [unrolled: 1-line block ×5, first 2 shown]
	v_mov_b32_e32 v26, v2
	s_add_i32 s13, s13, -1
	s_addk_i32 s12, 0xa0
	s_cmp_eq_u32 s13, 0
	s_cbranch_scc1 .LBB23_76
.LBB23_54:                              ; =>This Inner Loop Header: Depth=1
	v_mov_b32_e32 v2, s12
	v_cmp_ne_u32_e32 vcc_lo, 1, v18
	s_mov_b32 s14, 0
	s_mov_b32 s7, -1
	ds_read2_b64 v[2:5], v2 offset1:1
	s_and_b32 vcc_lo, exec_lo, vcc_lo
	s_waitcnt lgkmcnt(0)
	buffer_store_dword v5, off, s[0:3], 0 offset:28
	buffer_store_dword v4, off, s[0:3], 0 offset:24
	;; [unrolled: 1-line block ×4, first 2 shown]
	s_cbranch_vccz .LBB23_57
; %bb.55:                               ;   in Loop: Header=BB23_54 Depth=1
	s_and_b32 vcc_lo, exec_lo, s7
	s_mov_b32 s7, 0
	s_cbranch_vccnz .LBB23_66
.LBB23_56:                              ;   in Loop: Header=BB23_54 Depth=1
                                        ; implicit-def: $vgpr2
	s_and_saveexec_b32 s15, s14
	s_xor_b32 s14, exec_lo, s15
	s_cbranch_execnz .LBB23_67
	s_branch .LBB23_73
.LBB23_57:                              ;   in Loop: Header=BB23_54 Depth=1
	v_cmp_gt_f64_e32 vcc_lo, 0, v[2:3]
	v_xor_b32_e32 v9, 0x80000000, v3
	v_xor_b32_e32 v10, 0x80000000, v5
	v_mov_b32_e32 v8, v2
	s_mov_b32 s7, exec_lo
                                        ; implicit-def: $vgpr12_vgpr13
	v_cndmask_b32_e32 v9, v3, v9, vcc_lo
	v_cmp_gt_f64_e32 vcc_lo, 0, v[4:5]
	v_cndmask_b32_e32 v11, v5, v10, vcc_lo
	v_mov_b32_e32 v10, v4
	v_cmpx_ngt_f64_e32 v[8:9], v[10:11]
	s_xor_b32 s7, exec_lo, s7
	s_cbranch_execz .LBB23_61
; %bb.58:                               ;   in Loop: Header=BB23_54 Depth=1
	v_mov_b32_e32 v12, 0
	v_mov_b32_e32 v13, 0
	s_mov_b32 s14, exec_lo
	v_cmpx_neq_f64_e32 0, v[4:5]
	s_cbranch_execz .LBB23_60
; %bb.59:                               ;   in Loop: Header=BB23_54 Depth=1
	v_div_scale_f64 v[12:13], null, v[10:11], v[10:11], v[8:9]
	v_div_scale_f64 v[31:32], vcc_lo, v[8:9], v[10:11], v[8:9]
	v_rcp_f64_e32 v[27:28], v[12:13]
	v_fma_f64 v[29:30], -v[12:13], v[27:28], 1.0
	v_fma_f64 v[27:28], v[27:28], v[29:30], v[27:28]
	v_fma_f64 v[29:30], -v[12:13], v[27:28], 1.0
	v_fma_f64 v[27:28], v[27:28], v[29:30], v[27:28]
	v_mul_f64 v[29:30], v[31:32], v[27:28]
	v_fma_f64 v[12:13], -v[12:13], v[29:30], v[31:32]
	v_div_fmas_f64 v[12:13], v[12:13], v[27:28], v[29:30]
	v_div_fixup_f64 v[8:9], v[12:13], v[10:11], v[8:9]
	v_fma_f64 v[8:9], v[8:9], v[8:9], 1.0
	v_cmp_gt_f64_e32 vcc_lo, 0x10000000, v[8:9]
	v_cndmask_b32_e64 v12, 0, 0x100, vcc_lo
	v_ldexp_f64 v[8:9], v[8:9], v12
	v_rsq_f64_e32 v[12:13], v[8:9]
	v_mul_f64 v[27:28], v[8:9], v[12:13]
	v_mul_f64 v[12:13], v[12:13], 0.5
	v_fma_f64 v[29:30], -v[12:13], v[27:28], 0.5
	v_fma_f64 v[27:28], v[27:28], v[29:30], v[27:28]
	v_fma_f64 v[12:13], v[12:13], v[29:30], v[12:13]
	v_fma_f64 v[29:30], -v[27:28], v[27:28], v[8:9]
	v_fma_f64 v[27:28], v[29:30], v[12:13], v[27:28]
	v_fma_f64 v[29:30], -v[27:28], v[27:28], v[8:9]
	v_fma_f64 v[12:13], v[29:30], v[12:13], v[27:28]
	v_cndmask_b32_e64 v27, 0, 0xffffff80, vcc_lo
	v_cmp_class_f64_e64 vcc_lo, v[8:9], 0x260
	v_ldexp_f64 v[12:13], v[12:13], v27
	v_cndmask_b32_e32 v9, v13, v9, vcc_lo
	v_cndmask_b32_e32 v8, v12, v8, vcc_lo
	v_mul_f64 v[12:13], v[10:11], v[8:9]
.LBB23_60:                              ;   in Loop: Header=BB23_54 Depth=1
	s_or_b32 exec_lo, exec_lo, s14
                                        ; implicit-def: $vgpr8_vgpr9
                                        ; implicit-def: $vgpr10_vgpr11
.LBB23_61:                              ;   in Loop: Header=BB23_54 Depth=1
	s_andn2_saveexec_b32 s7, s7
	s_cbranch_execz .LBB23_63
; %bb.62:                               ;   in Loop: Header=BB23_54 Depth=1
	v_div_scale_f64 v[12:13], null, v[8:9], v[8:9], v[10:11]
	v_div_scale_f64 v[31:32], vcc_lo, v[10:11], v[8:9], v[10:11]
	v_rcp_f64_e32 v[27:28], v[12:13]
	v_fma_f64 v[29:30], -v[12:13], v[27:28], 1.0
	v_fma_f64 v[27:28], v[27:28], v[29:30], v[27:28]
	v_fma_f64 v[29:30], -v[12:13], v[27:28], 1.0
	v_fma_f64 v[27:28], v[27:28], v[29:30], v[27:28]
	v_mul_f64 v[29:30], v[31:32], v[27:28]
	v_fma_f64 v[12:13], -v[12:13], v[29:30], v[31:32]
	v_div_fmas_f64 v[12:13], v[12:13], v[27:28], v[29:30]
	v_div_fixup_f64 v[10:11], v[12:13], v[8:9], v[10:11]
	v_fma_f64 v[10:11], v[10:11], v[10:11], 1.0
	v_cmp_gt_f64_e32 vcc_lo, 0x10000000, v[10:11]
	v_cndmask_b32_e64 v12, 0, 0x100, vcc_lo
	v_ldexp_f64 v[10:11], v[10:11], v12
	v_rsq_f64_e32 v[12:13], v[10:11]
	v_mul_f64 v[27:28], v[10:11], v[12:13]
	v_mul_f64 v[12:13], v[12:13], 0.5
	v_fma_f64 v[29:30], -v[12:13], v[27:28], 0.5
	v_fma_f64 v[27:28], v[27:28], v[29:30], v[27:28]
	v_fma_f64 v[12:13], v[12:13], v[29:30], v[12:13]
	v_fma_f64 v[29:30], -v[27:28], v[27:28], v[10:11]
	v_fma_f64 v[27:28], v[29:30], v[12:13], v[27:28]
	v_fma_f64 v[29:30], -v[27:28], v[27:28], v[10:11]
	v_fma_f64 v[12:13], v[29:30], v[12:13], v[27:28]
	v_cndmask_b32_e64 v27, 0, 0xffffff80, vcc_lo
	v_cmp_class_f64_e64 vcc_lo, v[10:11], 0x260
	v_ldexp_f64 v[12:13], v[12:13], v27
	v_cndmask_b32_e32 v11, v13, v11, vcc_lo
	v_cndmask_b32_e32 v10, v12, v10, vcc_lo
	v_mul_f64 v[12:13], v[8:9], v[10:11]
.LBB23_63:                              ;   in Loop: Header=BB23_54 Depth=1
	s_or_b32 exec_lo, exec_lo, s7
	v_cmp_ge_f64_e32 vcc_lo, v[6:7], v[12:13]
	v_cndmask_b32_e32 v8, 16, v24, vcc_lo
	s_clause 0x3
	buffer_load_dword v9, v8, s[0:3], 0 offen
	buffer_load_dword v10, v8, s[0:3], 0 offen offset:4
	buffer_load_dword v11, v8, s[0:3], 0 offen offset:8
	;; [unrolled: 1-line block ×3, first 2 shown]
	s_waitcnt vmcnt(3)
	buffer_store_dword v9, off, s[0:3], 0 offset:16
	s_waitcnt vmcnt(2)
	buffer_store_dword v10, off, s[0:3], 0 offset:20
	;; [unrolled: 2-line block ×4, first 2 shown]
	s_waitcnt_vscnt null, 0x0
	buffer_gl0_inv
	s_and_saveexec_b32 s7, s6
	s_cbranch_execz .LBB23_65
; %bb.64:                               ;   in Loop: Header=BB23_54 Depth=1
	s_clause 0x3
	buffer_load_dword v8, off, s[0:3], 0 offset:16
	buffer_load_dword v9, off, s[0:3], 0 offset:20
	;; [unrolled: 1-line block ×4, first 2 shown]
	v_mov_b32_e32 v12, s12
	s_waitcnt vmcnt(0)
	ds_write2_b64 v12, v[8:9], v[10:11] offset1:1
.LBB23_65:                              ;   in Loop: Header=BB23_54 Depth=1
	s_or_b32 exec_lo, exec_lo, s7
	s_mov_b32 s14, -1
	s_mov_b32 s7, 0
	s_branch .LBB23_56
.LBB23_66:                              ;   in Loop: Header=BB23_54 Depth=1
	v_cmp_neq_f64_e32 vcc_lo, 0, v[2:3]
	v_cmp_neq_f64_e64 s7, 0, v[4:5]
	s_andn2_b32 s14, s14, exec_lo
	s_or_b32 s7, vcc_lo, s7
	s_and_b32 s15, s7, exec_lo
	s_mov_b32 s7, -1
	s_or_b32 s14, s14, s15
                                        ; implicit-def: $vgpr2
	s_and_saveexec_b32 s15, s14
	s_xor_b32 s14, exec_lo, s15
	s_cbranch_execz .LBB23_73
.LBB23_67:                              ;   in Loop: Header=BB23_54 Depth=1
	s_mov_b32 s15, exec_lo
	v_cmpx_gt_i32_e64 s8, v22
	s_cbranch_execz .LBB23_72
; %bb.68:                               ;   in Loop: Header=BB23_54 Depth=1
	s_clause 0x3
	buffer_load_dword v8, off, s[0:3], 0 offset:24
	buffer_load_dword v9, off, s[0:3], 0 offset:28
	;; [unrolled: 1-line block ×4, first 2 shown]
	s_waitcnt vmcnt(2)
	v_mul_f64 v[2:3], v[8:9], v[8:9]
	s_waitcnt vmcnt(0)
	v_fma_f64 v[12:13], v[10:11], v[10:11], v[2:3]
	v_div_scale_f64 v[27:28], null, v[12:13], v[12:13], 1.0
	v_div_scale_f64 v[29:30], vcc_lo, 1.0, v[12:13], 1.0
	v_rcp_f64_e32 v[2:3], v[27:28]
	v_fma_f64 v[4:5], -v[27:28], v[2:3], 1.0
	v_fma_f64 v[2:3], v[2:3], v[4:5], v[2:3]
	v_fma_f64 v[4:5], -v[27:28], v[2:3], 1.0
	v_fma_f64 v[31:32], v[2:3], v[4:5], v[2:3]
	ds_read_b128 v[2:5], v23
	s_waitcnt lgkmcnt(0)
	s_waitcnt_vscnt null, 0x0
	buffer_gl0_inv
	v_mul_f64 v[33:34], v[29:30], v[31:32]
	v_fma_f64 v[27:28], -v[27:28], v[33:34], v[29:30]
	v_mul_f64 v[29:30], v[4:5], v[8:9]
	v_mul_f64 v[8:9], v[8:9], -v[2:3]
	v_div_fmas_f64 v[27:28], v[27:28], v[31:32], v[33:34]
	v_fma_f64 v[2:3], v[2:3], v[10:11], v[29:30]
	v_fma_f64 v[4:5], v[4:5], v[10:11], v[8:9]
	v_div_fixup_f64 v[12:13], v[27:28], v[12:13], 1.0
	v_mul_f64 v[2:3], v[2:3], v[12:13]
	v_mul_f64 v[4:5], v[4:5], v[12:13]
	s_and_saveexec_b32 s18, s5
; %bb.69:                               ;   in Loop: Header=BB23_54 Depth=1
	ds_write_b128 v23, v[2:5]
; %bb.70:                               ;   in Loop: Header=BB23_54 Depth=1
	s_or_b32 exec_lo, exec_lo, s18
	v_cmp_gt_i32_e32 vcc_lo, s8, v25
	s_and_b32 exec_lo, exec_lo, vcc_lo
	s_cbranch_execz .LBB23_72
; %bb.71:                               ;   in Loop: Header=BB23_54 Depth=1
	ds_read_b128 v[8:11], v16
	ds_read_b128 v[27:30], v15
	s_waitcnt lgkmcnt(0)
	v_fma_f64 v[12:13], -v[2:3], v[8:9], v[27:28]
	v_fma_f64 v[27:28], -v[4:5], v[8:9], v[29:30]
	v_fma_f64 v[8:9], v[4:5], v[10:11], v[12:13]
	v_fma_f64 v[10:11], -v[2:3], v[10:11], v[27:28]
	ds_write_b128 v15, v[8:11]
.LBB23_72:                              ;   in Loop: Header=BB23_54 Depth=1
	s_or_b32 exec_lo, exec_lo, s15
	v_add_nc_u32_e32 v2, 1, v26
	s_andn2_b32 s7, s7, exec_lo
.LBB23_73:                              ;   in Loop: Header=BB23_54 Depth=1
	s_or_b32 exec_lo, exec_lo, s14
	s_andn2_b32 s14, s9, exec_lo
	s_and_b32 s9, s9, exec_lo
	s_or_b32 s9, s14, s9
	s_and_saveexec_b32 s14, s7
	s_cbranch_execz .LBB23_53
; %bb.74:                               ;   in Loop: Header=BB23_54 Depth=1
	v_add_nc_u32_e32 v2, 1, v26
	s_or_b32 s9, s9, exec_lo
	s_branch .LBB23_53
.LBB23_75:
	s_mov_b32 s9, -1
	s_branch .LBB23_103
.LBB23_76:
	s_waitcnt lgkmcnt(0)
	s_waitcnt_vscnt null, 0x0
	buffer_gl0_inv
	s_and_saveexec_b32 s5, s4
	s_cbranch_execz .LBB23_78
; %bb.77:
	s_cmp_eq_u32 s34, 0
	s_cselect_b32 vcc_lo, -1, 0
	v_cndmask_b32_e32 v2, v1, v0, vcc_lo
	v_mad_u64_u32 v[2:3], null, s30, s8, v[2:3]
	v_cndmask_b32_e32 v3, v0, v1, vcc_lo
	v_mad_u64_u32 v[6:7], null, v2, s8, v[3:4]
	ds_read2_b64 v[2:5], v14 offset1:1
	v_mov_b32_e32 v7, 0
	v_lshlrev_b64 v[6:7], 4, v[6:7]
	v_add_co_u32 v6, vcc_lo, s16, v6
	v_add_co_ci_u32_e64 v7, null, s17, v7, vcc_lo
	s_waitcnt lgkmcnt(0)
	global_store_dwordx4 v[6:7], v[2:5], off
.LBB23_78:
	s_or_b32 exec_lo, exec_lo, s5
.LBB23_79:
	s_add_i32 s5, s30, 1
	s_cmp_ge_i32 s5, s11
	s_cbranch_scc1 .LBB23_103
; %bb.80:
	s_cmp_eq_u32 s34, 0
	v_lshlrev_b32_e32 v10, 4, v1
	s_cselect_b32 vcc_lo, -1, 0
	s_cmp_gt_i32 s8, 0
	v_mul_u32_u24_e32 v2, 0x90, v0
	s_cselect_b32 s6, -1, 0
	s_add_i32 s12, s8, -1
	s_and_b32 s7, s8, 3
	s_movk_i32 s14, 0x480
	s_cmp_gt_u32 s12, 2
	v_add3_u32 v9, v20, v21, 0x480
	v_cmp_gt_u32_e64 s4, s8, v19
	v_cndmask_b32_e32 v6, v1, v0, vcc_lo
	v_cndmask_b32_e32 v7, v0, v1, vcc_lo
	s_cselect_b32 s12, -1, 0
	s_and_b32 s13, s8, 0x7ffffffc
	v_mad_u32_u24 v11, 0x90, v0, s14
	v_add_nc_u32_e32 v8, 16, v10
	v_add3_u32 v12, v2, v10, 0x490
	v_mov_b32_e32 v13, 0
	s_cmp_lg_u32 s7, 0
	s_cselect_b32 s14, -1, 0
	s_branch .LBB23_82
.LBB23_81:                              ;   in Loop: Header=BB23_82 Depth=1
	s_or_b32 exec_lo, exec_lo, s15
	s_add_i32 s5, s5, 1
	s_cmp_lt_i32 s5, s11
	s_cbranch_scc0 .LBB23_103
.LBB23_82:                              ; =>This Loop Header: Depth=1
                                        ;     Child Loop BB23_88 Depth 2
                                        ;     Child Loop BB23_99 Depth 2
	v_mov_b32_e32 v4, 0
	v_mov_b32_e32 v2, 0
	;; [unrolled: 1-line block ×4, first 2 shown]
	s_waitcnt lgkmcnt(0)
	s_waitcnt_vscnt null, 0x0
	buffer_gl0_inv
	s_and_saveexec_b32 s15, s4
	s_cbranch_execz .LBB23_84
; %bb.83:                               ;   in Loop: Header=BB23_82 Depth=1
	v_mad_u64_u32 v[2:3], null, s5, s8, v[6:7]
	v_mad_u64_u32 v[2:3], null, v2, s8, v[7:8]
	v_mov_b32_e32 v3, v13
	v_lshlrev_b64 v[2:3], 4, v[2:3]
	v_add_co_u32 v2, vcc_lo, s16, v2
	v_add_co_ci_u32_e64 v3, null, s17, v3, vcc_lo
	global_load_dwordx4 v[2:5], v[2:3], off
.LBB23_84:                              ;   in Loop: Header=BB23_82 Depth=1
	s_or_b32 exec_lo, exec_lo, s15
	s_andn2_b32 vcc_lo, exec_lo, s6
	s_waitcnt vmcnt(0)
	ds_write_b128 v9, v[2:5]
	s_waitcnt lgkmcnt(0)
	buffer_gl0_inv
	s_cbranch_vccnz .LBB23_101
; %bb.85:                               ;   in Loop: Header=BB23_82 Depth=1
	s_andn2_b32 vcc_lo, exec_lo, s12
	s_mov_b32 s19, 0
	s_cbranch_vccnz .LBB23_96
; %bb.86:                               ;   in Loop: Header=BB23_82 Depth=1
	v_mov_b32_e32 v2, v11
	s_mov_b32 s15, 0
	s_mov_b32 s18, 16
	s_branch .LBB23_88
.LBB23_87:                              ;   in Loop: Header=BB23_88 Depth=2
	s_or_b32 exec_lo, exec_lo, s19
	v_add_nc_u32_e32 v2, 64, v2
	s_add_i32 s15, s15, 4
	s_addk_i32 s18, 0x280
	s_cmp_eq_u32 s13, s15
	s_mov_b32 s19, s13
	s_cbranch_scc1 .LBB23_96
.LBB23_88:                              ;   Parent Loop BB23_82 Depth=1
                                        ; =>  This Inner Loop Header: Depth=2
	v_add_nc_u32_e32 v5, s15, v1
	v_add_nc_u32_e32 v4, s18, v10
	v_add_nc_u32_e32 v3, 1, v5
	v_cmp_gt_i32_e32 vcc_lo, s8, v3
	v_add_nc_u32_e32 v3, v2, v10
	s_and_saveexec_b32 s19, vcc_lo
	s_cbranch_execz .LBB23_90
; %bb.89:                               ;   in Loop: Header=BB23_88 Depth=2
	ds_read_b128 v[18:21], v4
	ds_read_b128 v[22:25], v2
	ds_read_b128 v[26:29], v3 offset:16
	s_waitcnt lgkmcnt(0)
	v_fma_f64 v[14:15], -v[18:19], v[22:23], v[26:27]
	v_fma_f64 v[22:23], -v[20:21], v[22:23], v[28:29]
	v_fma_f64 v[20:21], v[20:21], v[24:25], v[14:15]
	v_fma_f64 v[22:23], -v[18:19], v[24:25], v[22:23]
	ds_write_b128 v3, v[20:23] offset:16
.LBB23_90:                              ;   in Loop: Header=BB23_88 Depth=2
	s_or_b32 exec_lo, exec_lo, s19
	v_add_nc_u32_e32 v14, 2, v5
	s_mov_b32 s19, exec_lo
	v_cmpx_gt_i32_e64 s8, v14
	s_cbranch_execz .LBB23_92
; %bb.91:                               ;   in Loop: Header=BB23_88 Depth=2
	ds_read_b128 v[18:21], v4 offset:160
	ds_read_b128 v[22:25], v2 offset:16
	;; [unrolled: 1-line block ×3, first 2 shown]
	s_waitcnt lgkmcnt(0)
	v_fma_f64 v[14:15], -v[18:19], v[22:23], v[26:27]
	v_fma_f64 v[22:23], -v[20:21], v[22:23], v[28:29]
	v_fma_f64 v[20:21], v[20:21], v[24:25], v[14:15]
	v_fma_f64 v[22:23], -v[18:19], v[24:25], v[22:23]
	ds_write_b128 v3, v[20:23] offset:32
.LBB23_92:                              ;   in Loop: Header=BB23_88 Depth=2
	s_or_b32 exec_lo, exec_lo, s19
	v_add_nc_u32_e32 v14, 3, v5
	s_mov_b32 s19, exec_lo
	v_cmpx_gt_i32_e64 s8, v14
	s_cbranch_execz .LBB23_94
; %bb.93:                               ;   in Loop: Header=BB23_88 Depth=2
	ds_read_b128 v[18:21], v4 offset:320
	ds_read_b128 v[22:25], v2 offset:32
	;; [unrolled: 1-line block ×3, first 2 shown]
	s_waitcnt lgkmcnt(0)
	v_fma_f64 v[14:15], -v[18:19], v[22:23], v[26:27]
	v_fma_f64 v[22:23], -v[20:21], v[22:23], v[28:29]
	v_fma_f64 v[20:21], v[20:21], v[24:25], v[14:15]
	v_fma_f64 v[22:23], -v[18:19], v[24:25], v[22:23]
	ds_write_b128 v3, v[20:23] offset:48
.LBB23_94:                              ;   in Loop: Header=BB23_88 Depth=2
	s_or_b32 exec_lo, exec_lo, s19
	v_add_nc_u32_e32 v5, 4, v5
	s_mov_b32 s19, exec_lo
	v_cmpx_gt_i32_e64 s8, v5
	s_cbranch_execz .LBB23_87
; %bb.95:                               ;   in Loop: Header=BB23_88 Depth=2
	ds_read_b128 v[18:21], v4 offset:480
	ds_read_b128 v[22:25], v2 offset:48
	;; [unrolled: 1-line block ×3, first 2 shown]
	s_waitcnt lgkmcnt(0)
	v_fma_f64 v[4:5], -v[18:19], v[22:23], v[26:27]
	v_fma_f64 v[14:15], -v[20:21], v[22:23], v[28:29]
	v_fma_f64 v[20:21], v[20:21], v[24:25], v[4:5]
	v_fma_f64 v[22:23], -v[18:19], v[24:25], v[14:15]
	ds_write_b128 v3, v[20:23] offset:64
	s_branch .LBB23_87
.LBB23_96:                              ;   in Loop: Header=BB23_82 Depth=1
	s_andn2_b32 vcc_lo, exec_lo, s14
	s_cbranch_vccnz .LBB23_101
; %bb.97:                               ;   in Loop: Header=BB23_82 Depth=1
	v_mad_u64_u32 v[2:3], null, 0xa0, s19, v[8:9]
	s_lshl_b32 s15, s19, 4
	v_add_nc_u32_e32 v5, s19, v17
	v_add_nc_u32_e32 v3, s15, v12
	;; [unrolled: 1-line block ×3, first 2 shown]
	s_mov_b32 s15, s7
	s_inst_prefetch 0x1
	s_branch .LBB23_99
	.p2align	6
.LBB23_98:                              ;   in Loop: Header=BB23_99 Depth=2
	s_or_b32 exec_lo, exec_lo, s18
	v_add_nc_u32_e32 v2, 0xa0, v2
	v_add_nc_u32_e32 v3, 16, v3
	;; [unrolled: 1-line block ×4, first 2 shown]
	s_add_i32 s15, s15, -1
	s_cmp_lg_u32 s15, 0
	s_cbranch_scc0 .LBB23_101
.LBB23_99:                              ;   Parent Loop BB23_82 Depth=1
                                        ; =>  This Inner Loop Header: Depth=2
	s_mov_b32 s18, exec_lo
	v_cmpx_gt_i32_e64 s8, v5
	s_cbranch_execz .LBB23_98
; %bb.100:                              ;   in Loop: Header=BB23_99 Depth=2
	ds_read_b128 v[18:21], v2
	ds_read_b128 v[22:25], v4
	;; [unrolled: 1-line block ×3, first 2 shown]
	s_waitcnt lgkmcnt(0)
	v_fma_f64 v[14:15], -v[18:19], v[22:23], v[26:27]
	v_fma_f64 v[22:23], -v[20:21], v[22:23], v[28:29]
	v_fma_f64 v[20:21], v[20:21], v[24:25], v[14:15]
	v_fma_f64 v[22:23], -v[18:19], v[24:25], v[22:23]
	ds_write_b128 v3, v[20:23]
	s_branch .LBB23_98
.LBB23_101:                             ;   in Loop: Header=BB23_82 Depth=1
	s_inst_prefetch 0x2
	s_waitcnt lgkmcnt(0)
	buffer_gl0_inv
	s_and_saveexec_b32 s15, s4
	s_cbranch_execz .LBB23_81
; %bb.102:                              ;   in Loop: Header=BB23_82 Depth=1
	v_mad_u64_u32 v[2:3], null, s5, s8, v[6:7]
	v_mad_u64_u32 v[14:15], null, v2, s8, v[7:8]
	ds_read2_b64 v[2:5], v9 offset1:1
	v_mov_b32_e32 v15, v13
	v_lshlrev_b64 v[14:15], 4, v[14:15]
	v_add_co_u32 v14, vcc_lo, s16, v14
	v_add_co_ci_u32_e64 v15, null, s17, v15, vcc_lo
	s_waitcnt lgkmcnt(0)
	global_store_dwordx4 v[14:15], v[2:5], off
	s_branch .LBB23_81
.LBB23_103:
	v_or_b32_e32 v0, v0, v1
	s_mov_b32 s4, exec_lo
	v_cmpx_eq_u32_e32 0, v0
	s_cbranch_execz .LBB23_107
; %bb.104:
	v_mov_b32_e32 v0, 0
	v_mov_b32_e32 v1, 1
	s_add_u32 s4, s24, s28
	s_addc_u32 s5, s25, s29
	s_waitcnt lgkmcnt(0)
	s_waitcnt_vscnt null, 0x0
	global_store_dword v0, v1, s[4:5]
	s_and_b32 exec_lo, exec_lo, s9
	s_cbranch_execz .LBB23_107
; %bb.105:
	v_mbcnt_lo_u32_b32 v0, exec_lo, 0
	v_cmp_eq_u32_e32 vcc_lo, 0, v0
	s_and_b32 exec_lo, exec_lo, vcc_lo
	s_cbranch_execz .LBB23_107
; %bb.106:
	s_add_i32 s4, s26, s10
	v_mov_b32_e32 v0, 0
	v_mov_b32_e32 v1, s4
	global_atomic_smin v0, v1, s[22:23]
.LBB23_107:
	s_endpgm
	.section	.rodata,"a",@progbits
	.p2align	6, 0x0
	.amdhsa_kernel _ZN9rocsparseL11bsrilu0_2_8ILj64ELj64ELj8E21rocsparse_complex_numIdEEEv20rocsparse_direction_iPKiS5_PT2_S5_iPiS5_S8_21rocsparse_index_base_imNS_24const_host_device_scalarIfEENSA_IdEENSA_IS6_EEb
		.amdhsa_group_segment_fixed_size 2304
		.amdhsa_private_segment_fixed_size 48
		.amdhsa_kernarg_size 384
		.amdhsa_user_sgpr_count 8
		.amdhsa_user_sgpr_private_segment_buffer 1
		.amdhsa_user_sgpr_dispatch_ptr 0
		.amdhsa_user_sgpr_queue_ptr 0
		.amdhsa_user_sgpr_kernarg_segment_ptr 1
		.amdhsa_user_sgpr_dispatch_id 0
		.amdhsa_user_sgpr_flat_scratch_init 1
		.amdhsa_user_sgpr_private_segment_size 0
		.amdhsa_wavefront_size32 1
		.amdhsa_uses_dynamic_stack 0
		.amdhsa_system_sgpr_private_segment_wavefront_offset 1
		.amdhsa_system_sgpr_workgroup_id_x 1
		.amdhsa_system_sgpr_workgroup_id_y 0
		.amdhsa_system_sgpr_workgroup_id_z 0
		.amdhsa_system_sgpr_workgroup_info 0
		.amdhsa_system_vgpr_workitem_id 1
		.amdhsa_next_free_vgpr 43
		.amdhsa_next_free_sgpr 44
		.amdhsa_reserve_vcc 1
		.amdhsa_reserve_flat_scratch 1
		.amdhsa_float_round_mode_32 0
		.amdhsa_float_round_mode_16_64 0
		.amdhsa_float_denorm_mode_32 3
		.amdhsa_float_denorm_mode_16_64 3
		.amdhsa_dx10_clamp 1
		.amdhsa_ieee_mode 1
		.amdhsa_fp16_overflow 0
		.amdhsa_workgroup_processor_mode 1
		.amdhsa_memory_ordered 1
		.amdhsa_forward_progress 1
		.amdhsa_shared_vgpr_count 0
		.amdhsa_exception_fp_ieee_invalid_op 0
		.amdhsa_exception_fp_denorm_src 0
		.amdhsa_exception_fp_ieee_div_zero 0
		.amdhsa_exception_fp_ieee_overflow 0
		.amdhsa_exception_fp_ieee_underflow 0
		.amdhsa_exception_fp_ieee_inexact 0
		.amdhsa_exception_int_div_zero 0
	.end_amdhsa_kernel
	.section	.text._ZN9rocsparseL11bsrilu0_2_8ILj64ELj64ELj8E21rocsparse_complex_numIdEEEv20rocsparse_direction_iPKiS5_PT2_S5_iPiS5_S8_21rocsparse_index_base_imNS_24const_host_device_scalarIfEENSA_IdEENSA_IS6_EEb,"axG",@progbits,_ZN9rocsparseL11bsrilu0_2_8ILj64ELj64ELj8E21rocsparse_complex_numIdEEEv20rocsparse_direction_iPKiS5_PT2_S5_iPiS5_S8_21rocsparse_index_base_imNS_24const_host_device_scalarIfEENSA_IdEENSA_IS6_EEb,comdat
.Lfunc_end23:
	.size	_ZN9rocsparseL11bsrilu0_2_8ILj64ELj64ELj8E21rocsparse_complex_numIdEEEv20rocsparse_direction_iPKiS5_PT2_S5_iPiS5_S8_21rocsparse_index_base_imNS_24const_host_device_scalarIfEENSA_IdEENSA_IS6_EEb, .Lfunc_end23-_ZN9rocsparseL11bsrilu0_2_8ILj64ELj64ELj8E21rocsparse_complex_numIdEEEv20rocsparse_direction_iPKiS5_PT2_S5_iPiS5_S8_21rocsparse_index_base_imNS_24const_host_device_scalarIfEENSA_IdEENSA_IS6_EEb
                                        ; -- End function
	.set _ZN9rocsparseL11bsrilu0_2_8ILj64ELj64ELj8E21rocsparse_complex_numIdEEEv20rocsparse_direction_iPKiS5_PT2_S5_iPiS5_S8_21rocsparse_index_base_imNS_24const_host_device_scalarIfEENSA_IdEENSA_IS6_EEb.num_vgpr, 43
	.set _ZN9rocsparseL11bsrilu0_2_8ILj64ELj64ELj8E21rocsparse_complex_numIdEEEv20rocsparse_direction_iPKiS5_PT2_S5_iPiS5_S8_21rocsparse_index_base_imNS_24const_host_device_scalarIfEENSA_IdEENSA_IS6_EEb.num_agpr, 0
	.set _ZN9rocsparseL11bsrilu0_2_8ILj64ELj64ELj8E21rocsparse_complex_numIdEEEv20rocsparse_direction_iPKiS5_PT2_S5_iPiS5_S8_21rocsparse_index_base_imNS_24const_host_device_scalarIfEENSA_IdEENSA_IS6_EEb.numbered_sgpr, 44
	.set _ZN9rocsparseL11bsrilu0_2_8ILj64ELj64ELj8E21rocsparse_complex_numIdEEEv20rocsparse_direction_iPKiS5_PT2_S5_iPiS5_S8_21rocsparse_index_base_imNS_24const_host_device_scalarIfEENSA_IdEENSA_IS6_EEb.num_named_barrier, 0
	.set _ZN9rocsparseL11bsrilu0_2_8ILj64ELj64ELj8E21rocsparse_complex_numIdEEEv20rocsparse_direction_iPKiS5_PT2_S5_iPiS5_S8_21rocsparse_index_base_imNS_24const_host_device_scalarIfEENSA_IdEENSA_IS6_EEb.private_seg_size, 48
	.set _ZN9rocsparseL11bsrilu0_2_8ILj64ELj64ELj8E21rocsparse_complex_numIdEEEv20rocsparse_direction_iPKiS5_PT2_S5_iPiS5_S8_21rocsparse_index_base_imNS_24const_host_device_scalarIfEENSA_IdEENSA_IS6_EEb.uses_vcc, 1
	.set _ZN9rocsparseL11bsrilu0_2_8ILj64ELj64ELj8E21rocsparse_complex_numIdEEEv20rocsparse_direction_iPKiS5_PT2_S5_iPiS5_S8_21rocsparse_index_base_imNS_24const_host_device_scalarIfEENSA_IdEENSA_IS6_EEb.uses_flat_scratch, 1
	.set _ZN9rocsparseL11bsrilu0_2_8ILj64ELj64ELj8E21rocsparse_complex_numIdEEEv20rocsparse_direction_iPKiS5_PT2_S5_iPiS5_S8_21rocsparse_index_base_imNS_24const_host_device_scalarIfEENSA_IdEENSA_IS6_EEb.has_dyn_sized_stack, 0
	.set _ZN9rocsparseL11bsrilu0_2_8ILj64ELj64ELj8E21rocsparse_complex_numIdEEEv20rocsparse_direction_iPKiS5_PT2_S5_iPiS5_S8_21rocsparse_index_base_imNS_24const_host_device_scalarIfEENSA_IdEENSA_IS6_EEb.has_recursion, 0
	.set _ZN9rocsparseL11bsrilu0_2_8ILj64ELj64ELj8E21rocsparse_complex_numIdEEEv20rocsparse_direction_iPKiS5_PT2_S5_iPiS5_S8_21rocsparse_index_base_imNS_24const_host_device_scalarIfEENSA_IdEENSA_IS6_EEb.has_indirect_call, 0
	.section	.AMDGPU.csdata,"",@progbits
; Kernel info:
; codeLenInByte = 5052
; TotalNumSgprs: 46
; NumVgprs: 43
; ScratchSize: 48
; MemoryBound: 0
; FloatMode: 240
; IeeeMode: 1
; LDSByteSize: 2304 bytes/workgroup (compile time only)
; SGPRBlocks: 0
; VGPRBlocks: 5
; NumSGPRsForWavesPerEU: 46
; NumVGPRsForWavesPerEU: 43
; Occupancy: 16
; WaveLimiterHint : 1
; COMPUTE_PGM_RSRC2:SCRATCH_EN: 1
; COMPUTE_PGM_RSRC2:USER_SGPR: 8
; COMPUTE_PGM_RSRC2:TRAP_HANDLER: 0
; COMPUTE_PGM_RSRC2:TGID_X_EN: 1
; COMPUTE_PGM_RSRC2:TGID_Y_EN: 0
; COMPUTE_PGM_RSRC2:TGID_Z_EN: 0
; COMPUTE_PGM_RSRC2:TIDIG_COMP_CNT: 1
	.section	.text._ZN9rocsparseL12bsrilu0_9_32ILj64ELj64ELj16E21rocsparse_complex_numIdEEEv20rocsparse_direction_iPKiS5_PT2_S5_iPiS5_S8_21rocsparse_index_base_imNS_24const_host_device_scalarIfEENSA_IdEENSA_IS6_EEb,"axG",@progbits,_ZN9rocsparseL12bsrilu0_9_32ILj64ELj64ELj16E21rocsparse_complex_numIdEEEv20rocsparse_direction_iPKiS5_PT2_S5_iPiS5_S8_21rocsparse_index_base_imNS_24const_host_device_scalarIfEENSA_IdEENSA_IS6_EEb,comdat
	.globl	_ZN9rocsparseL12bsrilu0_9_32ILj64ELj64ELj16E21rocsparse_complex_numIdEEEv20rocsparse_direction_iPKiS5_PT2_S5_iPiS5_S8_21rocsparse_index_base_imNS_24const_host_device_scalarIfEENSA_IdEENSA_IS6_EEb ; -- Begin function _ZN9rocsparseL12bsrilu0_9_32ILj64ELj64ELj16E21rocsparse_complex_numIdEEEv20rocsparse_direction_iPKiS5_PT2_S5_iPiS5_S8_21rocsparse_index_base_imNS_24const_host_device_scalarIfEENSA_IdEENSA_IS6_EEb
	.p2align	8
	.type	_ZN9rocsparseL12bsrilu0_9_32ILj64ELj64ELj16E21rocsparse_complex_numIdEEEv20rocsparse_direction_iPKiS5_PT2_S5_iPiS5_S8_21rocsparse_index_base_imNS_24const_host_device_scalarIfEENSA_IdEENSA_IS6_EEb,@function
_ZN9rocsparseL12bsrilu0_9_32ILj64ELj64ELj16E21rocsparse_complex_numIdEEEv20rocsparse_direction_iPKiS5_PT2_S5_iPiS5_S8_21rocsparse_index_base_imNS_24const_host_device_scalarIfEENSA_IdEENSA_IS6_EEb: ; @_ZN9rocsparseL12bsrilu0_9_32ILj64ELj64ELj16E21rocsparse_complex_numIdEEEv20rocsparse_direction_iPKiS5_PT2_S5_iPiS5_S8_21rocsparse_index_base_imNS_24const_host_device_scalarIfEENSA_IdEENSA_IS6_EEb
; %bb.0:
	s_add_u32 s6, s6, s9
	s_addc_u32 s7, s7, 0
	s_setreg_b32 hwreg(HW_REG_FLAT_SCR_LO), s6
	s_setreg_b32 hwreg(HW_REG_FLAT_SCR_HI), s7
	s_add_u32 s0, s0, s9
	s_clause 0x3
	s_load_dword s9, s[4:5], 0x78
	s_load_dwordx2 s[28:29], s[4:5], 0x48
	s_load_dwordx8 s[20:27], s[4:5], 0x50
	s_load_dwordx2 s[6:7], s[4:5], 0x70
	s_addc_u32 s1, s1, 0
	s_waitcnt lgkmcnt(0)
	s_bitcmp1_b32 s9, 0
	s_cselect_b32 s9, -1, 0
	s_cmp_eq_u32 s29, 0
	v_mov_b32_e32 v2, s27
	s_cselect_b32 s14, -1, 0
	s_cmp_lg_u32 s29, 0
	v_mov_b32_e32 v3, s26
	s_cselect_b32 s12, -1, 0
	s_or_b32 s15, s14, s9
	buffer_store_dword v2, off, s[0:3], 0 offset:36
	s_xor_b32 s13, s15, -1
	s_and_b32 s10, s14, exec_lo
	s_cselect_b32 s11, 0, s25
	s_cselect_b32 s10, 0, s24
	s_and_b32 vcc_lo, exec_lo, s15
	buffer_store_dword v3, off, s[0:3], 0 offset:32
	s_cbranch_vccnz .LBB24_2
; %bb.1:
	s_load_dword s10, s[22:23], 0x0
	s_waitcnt lgkmcnt(0)
	v_mov_b32_e32 v18, s10
	s_mov_b64 s[10:11], s[24:25]
	v_mov_b32_e32 v10, s10
	v_mov_b32_e32 v11, s11
	s_andn2_b32 vcc_lo, exec_lo, s13
	s_cbranch_vccz .LBB24_3
	s_branch .LBB24_4
.LBB24_2:
	v_cndmask_b32_e64 v18, s22, 0, s14
	v_mov_b32_e32 v10, s10
	v_mov_b32_e32 v11, s11
	s_andn2_b32 vcc_lo, exec_lo, s13
	s_cbranch_vccnz .LBB24_4
.LBB24_3:
	v_mov_b32_e32 v2, s24
	v_mov_b32_e32 v3, s25
	flat_load_dwordx2 v[10:11], v[2:3]
.LBB24_4:
	v_mov_b32_e32 v2, 0
	v_mov_b32_e32 v4, 0
	v_cndmask_b32_e64 v17, 0, 1, s12
	v_mov_b32_e32 v3, 0
	v_mov_b32_e32 v5, 0
	s_andn2_b32 vcc_lo, exec_lo, s12
	s_cbranch_vccnz .LBB24_7
; %bb.5:
	s_mov_b64 s[10:11], src_private_base
	s_xor_b32 s10, s9, -1
	s_and_b32 s9, s9, exec_lo
	s_cselect_b32 s9, 32, s26
	s_cselect_b32 s11, s11, s27
	v_mov_b32_e32 v2, s9
	v_mov_b32_e32 v3, s11
	;; [unrolled: 1-line block ×4, first 2 shown]
	s_andn2_b32 vcc_lo, exec_lo, s10
	flat_load_dwordx2 v[2:3], v[2:3]
	s_cbranch_vccnz .LBB24_7
; %bb.6:
	v_mov_b32_e32 v4, s26
	v_mov_b32_e32 v5, s27
	flat_load_dwordx2 v[4:5], v[4:5] offset:8
.LBB24_7:
	s_clause 0x1
	s_load_dwordx4 s[24:27], s[4:5], 0x30
	s_load_dwordx2 s[22:23], s[4:5], 0x40
	s_mov_b32 s9, 0
	s_lshl_b64 s[6:7], s[8:9], 2
	s_waitcnt lgkmcnt(0)
	s_add_u32 s6, s26, s6
	s_addc_u32 s7, s27, s7
	s_load_dword s26, s[6:7], 0x0
	s_load_dwordx8 s[12:19], s[4:5], 0x8
	s_waitcnt lgkmcnt(0)
	s_ashr_i32 s27, s26, 31
	s_lshl_b64 s[30:31], s[26:27], 2
	s_add_u32 s6, s18, s30
	s_addc_u32 s7, s19, s31
	s_load_dword s34, s[6:7], 0x0
	s_waitcnt vmcnt(0)
	buffer_store_dword v3, off, s[0:3], 0 offset:4
	buffer_store_dword v2, off, s[0:3], 0
	buffer_store_dword v5, off, s[0:3], 0 offset:12
	buffer_store_dword v4, off, s[0:3], 0 offset:8
	s_waitcnt lgkmcnt(0)
	s_cmp_eq_u32 s34, -1
	s_cbranch_scc1 .LBB24_104
; %bb.8:
	s_add_u32 s6, s12, s30
	s_addc_u32 s7, s13, s31
	s_load_dwordx2 s[6:7], s[6:7], 0x0
	s_clause 0x1
	s_load_dwordx2 s[36:37], s[4:5], 0x0
	s_load_dword s27, s[4:5], 0x28
	s_waitcnt lgkmcnt(0)
	s_sub_i32 s38, s6, s28
	s_sub_i32 s29, s7, s28
	s_cmp_ge_i32 s38, s34
	s_cbranch_scc1 .LBB24_93
; %bb.9:
	v_lshlrev_b32_e32 v2, 4, v1
	v_lshlrev_b32_e32 v5, 4, v0
	s_cmp_lg_u32 s36, 0
	v_cmp_gt_i32_e64 s4, s27, v0
	v_cmp_le_i32_e64 s5, s27, v0
	v_add3_u32 v12, v2, v0, s38
	v_mad_u64_u32 v[2:3], null, s27, s38, v[0:1]
	v_mad_u32_u24 v20, 0x110, v1, v5
	v_cmp_gt_i32_e64 s6, s27, v1
	v_ashrrev_i32_e32 v13, 31, v12
	v_cmp_eq_u32_e64 s7, 0, v1
	v_add_nc_u32_e32 v19, 1, v1
	v_cmp_gt_i32_e64 s8, s29, v12
	v_mul_lo_u32 v21, s27, v2
	v_lshlrev_b64 v[3:4], 2, v[12:13]
	v_mul_u32_u24_e32 v22, 0x110, v1
	v_add_nc_u32_e32 v23, 0x1100, v20
	v_add_nc_u32_e32 v24, 0x1210, v20
	v_mad_u32_u24 v25, 0x110, v1, 0x110
	v_add_nc_u32_e32 v26, 0x1100, v5
	v_add_co_u32 v13, vcc_lo, s14, v3
	v_add_co_ci_u32_e64 v14, null, s15, v4, vcc_lo
	v_mov_b32_e32 v27, 0
	s_cselect_b32 s33, -1, 0
	s_cmp_gt_i32 s27, 0
	s_mul_i32 s42, s27, s27
	s_cselect_b32 s35, -1, 0
	s_add_i32 s37, s37, 1
	s_lshl_b32 s43, s27, 4
	s_branch .LBB24_12
.LBB24_10:                              ;   in Loop: Header=BB24_12 Depth=1
	s_mov_b32 s9, -1
.LBB24_11:                              ;   in Loop: Header=BB24_12 Depth=1
	s_add_i32 s38, s38, 1
	v_add_nc_u32_e32 v21, s42, v21
	s_cmp_lt_i32 s38, s34
	s_cselect_b32 s11, -1, 0
	s_and_b32 s10, s10, s11
	s_and_b32 vcc_lo, exec_lo, s10
	s_cbranch_vccz .LBB24_93
.LBB24_12:                              ; =>This Loop Header: Depth=1
                                        ;     Child Loop BB24_15 Depth 2
                                        ;       Child Loop BB24_18 Depth 3
                                        ;     Child Loop BB24_24 Depth 2
                                        ;     Child Loop BB24_28 Depth 2
                                        ;       Child Loop BB24_31 Depth 3
                                        ;     Child Loop BB24_38 Depth 2
                                        ;       Child Loop BB24_41 Depth 3
                                        ;         Child Loop BB24_45 Depth 4
                                        ;     Child Loop BB24_49 Depth 2
                                        ;       Child Loop BB24_52 Depth 3
                                        ;     Child Loop BB24_61 Depth 2
                                        ;       Child Loop BB24_66 Depth 3
                                        ;       Child Loop BB24_75 Depth 3
                                        ;         Child Loop BB24_78 Depth 4
                                        ;       Child Loop BB24_84 Depth 3
                                        ;         Child Loop BB24_87 Depth 4
                                        ;           Child Loop BB24_88 Depth 5
	s_ashr_i32 s39, s38, 31
	s_lshl_b64 s[10:11], s[38:39], 2
	s_add_u32 s10, s14, s10
	s_addc_u32 s11, s15, s11
	global_load_dword v2, v27, s[10:11]
	s_waitcnt vmcnt(0)
	v_readfirstlane_b32 s10, v2
	s_and_saveexec_b32 s11, s4
	s_cbranch_execz .LBB24_22
; %bb.13:                               ;   in Loop: Header=BB24_12 Depth=1
	v_mov_b32_e32 v5, v23
	v_mov_b32_e32 v6, v21
	;; [unrolled: 1-line block ×3, first 2 shown]
	s_mul_i32 s39, s38, s27
	s_mov_b32 s40, 0
	s_inst_prefetch 0x1
	s_branch .LBB24_15
	.p2align	6
.LBB24_14:                              ;   in Loop: Header=BB24_15 Depth=2
	s_or_b32 exec_lo, exec_lo, s41
	v_add_nc_u32_e32 v2, 16, v2
	v_add_nc_u32_e32 v6, s43, v6
	;; [unrolled: 1-line block ×3, first 2 shown]
	v_cmp_le_i32_e32 vcc_lo, s27, v2
	s_or_b32 s40, vcc_lo, s40
	s_andn2_b32 exec_lo, exec_lo, s40
	s_cbranch_execz .LBB24_22
.LBB24_15:                              ;   Parent Loop BB24_12 Depth=1
                                        ; =>  This Loop Header: Depth=2
                                        ;       Child Loop BB24_18 Depth 3
	s_and_saveexec_b32 s41, s6
	s_cbranch_execz .LBB24_14
; %bb.16:                               ;   in Loop: Header=BB24_15 Depth=2
	v_mov_b32_e32 v7, v5
	v_mov_b32_e32 v8, v1
	s_mov_b32 s44, 0
	s_branch .LBB24_18
	.p2align	6
.LBB24_17:                              ;   in Loop: Header=BB24_18 Depth=3
	v_ashrrev_i32_e32 v4, 31, v3
	v_add_nc_u32_e32 v8, 4, v8
	v_lshlrev_b64 v[3:4], 4, v[3:4]
	v_add_co_u32 v3, vcc_lo, s16, v3
	v_add_co_ci_u32_e64 v4, null, s17, v4, vcc_lo
	v_cmp_le_i32_e32 vcc_lo, s27, v8
	global_load_dwordx4 v[28:31], v[3:4], off
	s_or_b32 s44, vcc_lo, s44
	s_waitcnt vmcnt(0)
	ds_write2_b64 v7, v[28:29], v[30:31] offset1:1
	v_add_nc_u32_e32 v7, 0x440, v7
	s_andn2_b32 exec_lo, exec_lo, s44
	s_cbranch_execz .LBB24_14
.LBB24_18:                              ;   Parent Loop BB24_12 Depth=1
                                        ;     Parent Loop BB24_15 Depth=2
                                        ; =>    This Inner Loop Header: Depth=3
	s_and_b32 vcc_lo, exec_lo, s33
	s_cbranch_vccz .LBB24_20
; %bb.19:                               ;   in Loop: Header=BB24_18 Depth=3
	v_add_nc_u32_e32 v3, s39, v8
	v_mad_u64_u32 v[3:4], null, v3, s27, v[2:3]
	s_cbranch_execnz .LBB24_17
	s_branch .LBB24_21
	.p2align	6
.LBB24_20:                              ;   in Loop: Header=BB24_18 Depth=3
                                        ; implicit-def: $vgpr3
.LBB24_21:                              ;   in Loop: Header=BB24_18 Depth=3
	v_add_nc_u32_e32 v3, v6, v8
	s_branch .LBB24_17
.LBB24_22:                              ;   in Loop: Header=BB24_12 Depth=1
	s_inst_prefetch 0x2
	s_or_b32 exec_lo, exec_lo, s11
	s_sub_i32 s10, s10, s28
	s_ashr_i32 s11, s10, 31
	s_lshl_b64 s[40:41], s[10:11], 2
	s_add_u32 s10, s18, s40
	s_addc_u32 s11, s19, s41
	global_load_dword v2, v27, s[10:11]
	s_waitcnt vmcnt(0)
	v_cmp_eq_u32_e32 vcc_lo, -1, v2
	v_readfirstlane_b32 s39, v2
	v_cmp_ne_u32_e64 s10, -1, v2
	s_cbranch_vccnz .LBB24_10
; %bb.23:                               ;   in Loop: Header=BB24_12 Depth=1
	s_add_u32 s44, s12, s40
	s_addc_u32 s45, s13, s41
	s_add_u32 s40, s24, s40
	global_load_dword v2, v27, s[44:45] offset:4
	s_addc_u32 s41, s25, s41
	s_waitcnt vmcnt(0)
	v_readfirstlane_b32 s44, v2
.LBB24_24:                              ;   Parent Loop BB24_12 Depth=1
                                        ; =>  This Inner Loop Header: Depth=2
	global_load_dword v2, v27, s[40:41] glc dlc
	s_waitcnt vmcnt(0)
	v_cmp_eq_u32_e32 vcc_lo, 0, v2
	s_cbranch_vccnz .LBB24_24
; %bb.25:                               ;   in Loop: Header=BB24_12 Depth=1
	s_waitcnt lgkmcnt(0)
	s_waitcnt_vscnt null, 0x0
	buffer_gl1_inv
	buffer_gl0_inv
	s_and_saveexec_b32 s11, s4
	s_cbranch_execz .LBB24_35
; %bb.26:                               ;   in Loop: Header=BB24_12 Depth=1
	s_mul_i32 s40, s39, s27
	v_mov_b32_e32 v6, v20
	v_add_nc_u32_e32 v2, s40, v0
	s_mov_b32 s41, 0
	v_mul_lo_u32 v5, s27, v2
	v_mov_b32_e32 v2, v0
	s_inst_prefetch 0x1
	s_branch .LBB24_28
	.p2align	6
.LBB24_27:                              ;   in Loop: Header=BB24_28 Depth=2
	s_or_b32 exec_lo, exec_lo, s45
	v_add_nc_u32_e32 v2, 16, v2
	v_add_nc_u32_e32 v5, s43, v5
	;; [unrolled: 1-line block ×3, first 2 shown]
	v_cmp_le_i32_e32 vcc_lo, s27, v2
	s_or_b32 s41, vcc_lo, s41
	s_andn2_b32 exec_lo, exec_lo, s41
	s_cbranch_execz .LBB24_35
.LBB24_28:                              ;   Parent Loop BB24_12 Depth=1
                                        ; =>  This Loop Header: Depth=2
                                        ;       Child Loop BB24_31 Depth 3
	s_and_saveexec_b32 s45, s6
	s_cbranch_execz .LBB24_27
; %bb.29:                               ;   in Loop: Header=BB24_28 Depth=2
	v_mov_b32_e32 v7, v6
	v_mov_b32_e32 v8, v1
	s_mov_b32 s46, 0
	s_branch .LBB24_31
	.p2align	6
.LBB24_30:                              ;   in Loop: Header=BB24_31 Depth=3
	v_ashrrev_i32_e32 v4, 31, v3
	v_add_nc_u32_e32 v8, 4, v8
	v_lshlrev_b64 v[3:4], 4, v[3:4]
	v_add_co_u32 v3, vcc_lo, s16, v3
	v_add_co_ci_u32_e64 v4, null, s17, v4, vcc_lo
	v_cmp_le_i32_e32 vcc_lo, s27, v8
	global_load_dwordx4 v[28:31], v[3:4], off
	s_or_b32 s46, vcc_lo, s46
	s_waitcnt vmcnt(0)
	ds_write2_b64 v7, v[28:29], v[30:31] offset1:1
	v_add_nc_u32_e32 v7, 0x440, v7
	s_andn2_b32 exec_lo, exec_lo, s46
	s_cbranch_execz .LBB24_27
.LBB24_31:                              ;   Parent Loop BB24_12 Depth=1
                                        ;     Parent Loop BB24_28 Depth=2
                                        ; =>    This Inner Loop Header: Depth=3
	s_and_b32 vcc_lo, exec_lo, s33
	s_cbranch_vccz .LBB24_33
; %bb.32:                               ;   in Loop: Header=BB24_31 Depth=3
	v_add_nc_u32_e32 v3, s40, v8
	v_mad_u64_u32 v[3:4], null, v3, s27, v[2:3]
	s_cbranch_execnz .LBB24_30
	s_branch .LBB24_34
	.p2align	6
.LBB24_33:                              ;   in Loop: Header=BB24_31 Depth=3
                                        ; implicit-def: $vgpr3
.LBB24_34:                              ;   in Loop: Header=BB24_31 Depth=3
	v_add_nc_u32_e32 v3, v5, v8
	s_branch .LBB24_30
.LBB24_35:                              ;   in Loop: Header=BB24_12 Depth=1
	s_inst_prefetch 0x2
	s_or_b32 exec_lo, exec_lo, s11
	s_andn2_b32 vcc_lo, exec_lo, s35
	s_waitcnt lgkmcnt(0)
	buffer_gl0_inv
	s_cbranch_vccnz .LBB24_46
; %bb.36:                               ;   in Loop: Header=BB24_12 Depth=1
	v_mov_b32_e32 v28, v25
	v_mov_b32_e32 v29, v24
	s_mov_b32 s40, 0
	s_branch .LBB24_38
.LBB24_37:                              ;   in Loop: Header=BB24_38 Depth=2
	s_or_b32 exec_lo, exec_lo, s41
	v_add_nc_u32_e32 v29, 0x110, v29
	v_add_nc_u32_e32 v28, 0x120, v28
	s_add_i32 s40, s40, 1
	s_waitcnt lgkmcnt(0)
	buffer_gl0_inv
	s_cmp_eq_u32 s40, s27
	s_cbranch_scc1 .LBB24_46
.LBB24_38:                              ;   Parent Loop BB24_12 Depth=1
                                        ; =>  This Loop Header: Depth=2
                                        ;       Child Loop BB24_41 Depth 3
                                        ;         Child Loop BB24_45 Depth 4
	s_and_saveexec_b32 s41, s4
	s_cbranch_execz .LBB24_37
; %bb.39:                               ;   in Loop: Header=BB24_38 Depth=2
	s_mul_i32 s45, s40, 0x110
	s_lshl_b32 s11, s40, 4
	s_mov_b32 s46, 0
	s_add_i32 s11, s45, s11
	s_addk_i32 s45, 0x1100
	v_mov_b32_e32 v2, s11
	ds_read_b128 v[2:5], v2
	s_waitcnt lgkmcnt(0)
	v_mul_f64 v[6:7], v[4:5], v[4:5]
	v_fma_f64 v[6:7], v[2:3], v[2:3], v[6:7]
	v_div_scale_f64 v[8:9], null, v[6:7], v[6:7], 1.0
	v_rcp_f64_e32 v[15:16], v[8:9]
	v_fma_f64 v[30:31], -v[8:9], v[15:16], 1.0
	v_fma_f64 v[15:16], v[15:16], v[30:31], v[15:16]
	v_fma_f64 v[30:31], -v[8:9], v[15:16], 1.0
	v_fma_f64 v[15:16], v[15:16], v[30:31], v[15:16]
	v_div_scale_f64 v[30:31], vcc_lo, 1.0, v[6:7], 1.0
	v_mul_f64 v[32:33], v[30:31], v[15:16]
	v_fma_f64 v[8:9], -v[8:9], v[32:33], v[30:31]
	v_add_nc_u32_e32 v30, s40, v19
	v_mov_b32_e32 v31, v29
	v_div_fmas_f64 v[8:9], v[8:9], v[15:16], v[32:33]
	v_mov_b32_e32 v32, v0
	v_cmp_gt_i32_e32 vcc_lo, s27, v30
	v_div_fixup_f64 v[15:16], v[8:9], v[6:7], 1.0
	s_branch .LBB24_41
.LBB24_40:                              ;   in Loop: Header=BB24_41 Depth=3
	s_or_b32 exec_lo, exec_lo, s47
	v_add_nc_u32_e32 v32, 16, v32
	v_add_nc_u32_e32 v31, 0x100, v31
	v_cmp_le_i32_e64 s11, s27, v32
	s_or_b32 s46, s11, s46
	s_andn2_b32 exec_lo, exec_lo, s46
	s_cbranch_execz .LBB24_37
.LBB24_41:                              ;   Parent Loop BB24_12 Depth=1
                                        ;     Parent Loop BB24_38 Depth=2
                                        ; =>    This Loop Header: Depth=3
                                        ;         Child Loop BB24_45 Depth 4
	v_lshl_add_u32 v33, v32, 4, s45
	ds_read_b128 v[6:9], v33
	s_waitcnt lgkmcnt(0)
	buffer_gl0_inv
	v_mul_f64 v[34:35], v[4:5], v[8:9]
	v_mul_f64 v[36:37], v[4:5], -v[6:7]
	v_fma_f64 v[6:7], v[6:7], v[2:3], v[34:35]
	v_fma_f64 v[8:9], v[8:9], v[2:3], v[36:37]
	v_mul_f64 v[6:7], v[15:16], v[6:7]
	v_mul_f64 v[8:9], v[15:16], v[8:9]
	s_and_saveexec_b32 s11, s7
; %bb.42:                               ;   in Loop: Header=BB24_41 Depth=3
	ds_write_b128 v33, v[6:9]
; %bb.43:                               ;   in Loop: Header=BB24_41 Depth=3
	s_or_b32 exec_lo, exec_lo, s11
	s_and_saveexec_b32 s47, vcc_lo
	s_cbranch_execz .LBB24_40
; %bb.44:                               ;   in Loop: Header=BB24_41 Depth=3
	v_mov_b32_e32 v33, v28
	v_mov_b32_e32 v34, v31
	;; [unrolled: 1-line block ×3, first 2 shown]
	s_mov_b32 s48, 0
	.p2align	6
.LBB24_45:                              ;   Parent Loop BB24_12 Depth=1
                                        ;     Parent Loop BB24_38 Depth=2
                                        ;       Parent Loop BB24_41 Depth=3
                                        ; =>      This Inner Loop Header: Depth=4
	ds_read_b128 v[36:39], v33
	ds_read_b128 v[40:43], v34
	v_add_nc_u32_e32 v35, 4, v35
	v_add_nc_u32_e32 v33, 0x440, v33
	v_cmp_le_i32_e64 s11, s27, v35
	s_or_b32 s48, s11, s48
	s_waitcnt lgkmcnt(0)
	v_fma_f64 v[40:41], -v[6:7], v[36:37], v[40:41]
	v_fma_f64 v[42:43], -v[8:9], v[36:37], v[42:43]
	v_fma_f64 v[36:37], v[8:9], v[38:39], v[40:41]
	v_fma_f64 v[38:39], -v[6:7], v[38:39], v[42:43]
	ds_write_b128 v34, v[36:39]
	v_add_nc_u32_e32 v34, 0x440, v34
	s_andn2_b32 exec_lo, exec_lo, s48
	s_cbranch_execnz .LBB24_45
	s_branch .LBB24_40
.LBB24_46:                              ;   in Loop: Header=BB24_12 Depth=1
	s_and_saveexec_b32 s40, s4
	s_cbranch_execz .LBB24_56
; %bb.47:                               ;   in Loop: Header=BB24_12 Depth=1
	v_mov_b32_e32 v5, v23
	v_mov_b32_e32 v6, v21
	;; [unrolled: 1-line block ×3, first 2 shown]
	s_mul_i32 s41, s38, s27
	s_mov_b32 s45, 0
	s_inst_prefetch 0x1
	s_branch .LBB24_49
	.p2align	6
.LBB24_48:                              ;   in Loop: Header=BB24_49 Depth=2
	s_or_b32 exec_lo, exec_lo, s46
	v_add_nc_u32_e32 v2, 16, v2
	v_add_nc_u32_e32 v6, s43, v6
	;; [unrolled: 1-line block ×3, first 2 shown]
	v_cmp_le_i32_e32 vcc_lo, s27, v2
	s_or_b32 s45, vcc_lo, s45
	s_andn2_b32 exec_lo, exec_lo, s45
	s_cbranch_execz .LBB24_56
.LBB24_49:                              ;   Parent Loop BB24_12 Depth=1
                                        ; =>  This Loop Header: Depth=2
                                        ;       Child Loop BB24_52 Depth 3
	s_and_saveexec_b32 s46, s6
	s_cbranch_execz .LBB24_48
; %bb.50:                               ;   in Loop: Header=BB24_49 Depth=2
	v_mov_b32_e32 v7, v5
	v_mov_b32_e32 v8, v1
	s_mov_b32 s47, 0
	s_branch .LBB24_52
	.p2align	6
.LBB24_51:                              ;   in Loop: Header=BB24_52 Depth=3
	ds_read2_b64 v[28:31], v7 offset1:1
	v_ashrrev_i32_e32 v4, 31, v3
	v_add_nc_u32_e32 v8, 4, v8
	v_add_nc_u32_e32 v7, 0x440, v7
	v_lshlrev_b64 v[3:4], 4, v[3:4]
	v_cmp_le_i32_e32 vcc_lo, s27, v8
	s_or_b32 s47, vcc_lo, s47
	v_add_co_u32 v3, s11, s16, v3
	v_add_co_ci_u32_e64 v4, null, s17, v4, s11
	s_waitcnt lgkmcnt(0)
	global_store_dwordx4 v[3:4], v[28:31], off
	s_andn2_b32 exec_lo, exec_lo, s47
	s_cbranch_execz .LBB24_48
.LBB24_52:                              ;   Parent Loop BB24_12 Depth=1
                                        ;     Parent Loop BB24_49 Depth=2
                                        ; =>    This Inner Loop Header: Depth=3
	s_and_b32 vcc_lo, exec_lo, s33
	s_cbranch_vccz .LBB24_54
; %bb.53:                               ;   in Loop: Header=BB24_52 Depth=3
	v_add_nc_u32_e32 v3, s41, v8
	v_mad_u64_u32 v[3:4], null, v3, s27, v[2:3]
	s_cbranch_execnz .LBB24_51
	s_branch .LBB24_55
	.p2align	6
.LBB24_54:                              ;   in Loop: Header=BB24_52 Depth=3
                                        ; implicit-def: $vgpr3
.LBB24_55:                              ;   in Loop: Header=BB24_52 Depth=3
	v_add_nc_u32_e32 v3, v6, v8
	s_branch .LBB24_51
.LBB24_56:                              ;   in Loop: Header=BB24_12 Depth=1
	s_inst_prefetch 0x2
	s_or_b32 exec_lo, exec_lo, s40
	s_sub_i32 s11, s44, s28
	s_add_i32 s40, s39, 1
	s_cmp_ge_i32 s40, s11
	s_cbranch_scc1 .LBB24_11
; %bb.57:                               ;   in Loop: Header=BB24_12 Depth=1
	v_mad_u64_u32 v[2:3], null, s27, s40, v[0:1]
	v_mul_lo_u32 v9, s27, v2
	s_branch .LBB24_61
.LBB24_58:                              ;   in Loop: Header=BB24_61 Depth=2
	s_or_b32 exec_lo, exec_lo, s41
.LBB24_59:                              ;   in Loop: Header=BB24_61 Depth=2
	s_or_b32 exec_lo, exec_lo, s39
.LBB24_60:                              ;   in Loop: Header=BB24_61 Depth=2
	v_add_nc_u32_e32 v9, s42, v9
	s_add_i32 s40, s40, 1
	s_waitcnt lgkmcnt(0)
	s_waitcnt_vscnt null, 0x0
	buffer_gl0_inv
	s_cmp_lt_i32 s40, s11
	s_cbranch_scc0 .LBB24_11
.LBB24_61:                              ;   Parent Loop BB24_12 Depth=1
                                        ; =>  This Loop Header: Depth=2
                                        ;       Child Loop BB24_66 Depth 3
                                        ;       Child Loop BB24_75 Depth 3
                                        ;         Child Loop BB24_78 Depth 4
                                        ;       Child Loop BB24_84 Depth 3
                                        ;         Child Loop BB24_87 Depth 4
                                        ;           Child Loop BB24_88 Depth 5
	s_ashr_i32 s41, s40, 31
	v_mov_b32_e32 v3, s37
	s_lshl_b64 s[44:45], s[40:41], 2
	s_add_u32 s44, s14, s44
	s_addc_u32 s45, s15, s45
	global_load_dword v2, v27, s[44:45]
	s_and_saveexec_b32 s39, s8
	s_cbranch_execz .LBB24_63
; %bb.62:                               ;   in Loop: Header=BB24_61 Depth=2
	global_load_dword v3, v[13:14], off
	s_waitcnt vmcnt(0)
	v_subrev_nc_u32_e32 v3, s28, v3
.LBB24_63:                              ;   in Loop: Header=BB24_61 Depth=2
	s_or_b32 exec_lo, exec_lo, s39
	s_waitcnt vmcnt(0)
	v_subrev_nc_u32_e32 v4, s28, v2
	v_mov_b32_e32 v5, v12
	s_mov_b32 s39, exec_lo
	v_cmpx_lt_i32_e64 v3, v4
	s_cbranch_execz .LBB24_69
; %bb.64:                               ;   in Loop: Header=BB24_61 Depth=2
	v_mov_b32_e32 v2, v12
	s_mov_b32 s41, 0
	s_branch .LBB24_66
	.p2align	6
.LBB24_65:                              ;   in Loop: Header=BB24_66 Depth=3
	s_or_b32 exec_lo, exec_lo, s44
	v_cmp_ge_i32_e32 vcc_lo, v3, v4
	v_mov_b32_e32 v2, v5
	s_or_b32 s41, vcc_lo, s41
	s_andn2_b32 exec_lo, exec_lo, s41
	s_cbranch_execz .LBB24_68
.LBB24_66:                              ;   Parent Loop BB24_12 Depth=1
                                        ;     Parent Loop BB24_61 Depth=2
                                        ; =>    This Inner Loop Header: Depth=3
	v_add_nc_u32_e32 v5, 64, v2
	v_mov_b32_e32 v3, s37
	s_mov_b32 s44, exec_lo
	v_cmpx_gt_i32_e64 s29, v5
	s_cbranch_execz .LBB24_65
; %bb.67:                               ;   in Loop: Header=BB24_66 Depth=3
	v_ashrrev_i32_e32 v3, 31, v2
	v_lshlrev_b64 v[2:3], 2, v[2:3]
	v_add_co_u32 v2, vcc_lo, s14, v2
	v_add_co_ci_u32_e64 v3, null, s15, v3, vcc_lo
	global_load_dword v2, v[2:3], off offset:256
	s_waitcnt vmcnt(0)
	v_subrev_nc_u32_e32 v3, s28, v2
	s_branch .LBB24_65
.LBB24_68:                              ;   in Loop: Header=BB24_61 Depth=2
	s_or_b32 exec_lo, exec_lo, s41
.LBB24_69:                              ;   in Loop: Header=BB24_61 Depth=2
	s_or_b32 exec_lo, exec_lo, s39
	v_cmp_eq_u32_e32 vcc_lo, v3, v4
	s_cbranch_vccz .LBB24_60
; %bb.70:                               ;   in Loop: Header=BB24_61 Depth=2
	s_ff1_i32_b32 s39, vcc_lo
	s_lshl_b32 s39, s39, 2
	v_mov_b32_e32 v2, s39
	ds_bpermute_b32 v5, v2, v5
	s_and_saveexec_b32 s39, s5
	s_xor_b32 s39, exec_lo, s39
	s_cbranch_execz .LBB24_72
; %bb.71:                               ;   in Loop: Header=BB24_61 Depth=2
	s_waitcnt lgkmcnt(0)
	s_waitcnt_vscnt null, 0x0
	buffer_gl0_inv
                                        ; implicit-def: $vgpr5
.LBB24_72:                              ;   in Loop: Header=BB24_61 Depth=2
	s_andn2_saveexec_b32 s39, s39
	s_cbranch_execz .LBB24_59
; %bb.73:                               ;   in Loop: Header=BB24_61 Depth=2
	v_mov_b32_e32 v6, v20
	v_mov_b32_e32 v7, v9
	;; [unrolled: 1-line block ×3, first 2 shown]
	s_mul_i32 s44, s40, s27
	s_mov_b32 s41, 0
	s_inst_prefetch 0x1
	s_branch .LBB24_75
	.p2align	6
.LBB24_74:                              ;   in Loop: Header=BB24_75 Depth=3
	s_or_b32 exec_lo, exec_lo, s45
	v_add_nc_u32_e32 v2, 16, v2
	v_add_nc_u32_e32 v7, s43, v7
	;; [unrolled: 1-line block ×3, first 2 shown]
	v_cmp_le_i32_e32 vcc_lo, s27, v2
	s_or_b32 s41, vcc_lo, s41
	s_andn2_b32 exec_lo, exec_lo, s41
	s_cbranch_execz .LBB24_82
.LBB24_75:                              ;   Parent Loop BB24_12 Depth=1
                                        ;     Parent Loop BB24_61 Depth=2
                                        ; =>    This Loop Header: Depth=3
                                        ;         Child Loop BB24_78 Depth 4
	s_and_saveexec_b32 s45, s6
	s_cbranch_execz .LBB24_74
; %bb.76:                               ;   in Loop: Header=BB24_75 Depth=3
	v_mov_b32_e32 v8, v6
	v_mov_b32_e32 v15, v1
	s_mov_b32 s46, 0
	s_branch .LBB24_78
	.p2align	6
.LBB24_77:                              ;   in Loop: Header=BB24_78 Depth=4
	v_ashrrev_i32_e32 v4, 31, v3
	v_add_nc_u32_e32 v15, 4, v15
	v_lshlrev_b64 v[3:4], 4, v[3:4]
	v_add_co_u32 v3, vcc_lo, s16, v3
	v_add_co_ci_u32_e64 v4, null, s17, v4, vcc_lo
	v_cmp_le_i32_e32 vcc_lo, s27, v15
	global_load_dwordx4 v[28:31], v[3:4], off
	s_or_b32 s46, vcc_lo, s46
	s_waitcnt vmcnt(0)
	ds_write2_b64 v8, v[28:29], v[30:31] offset1:1
	v_add_nc_u32_e32 v8, 0x440, v8
	s_andn2_b32 exec_lo, exec_lo, s46
	s_cbranch_execz .LBB24_74
.LBB24_78:                              ;   Parent Loop BB24_12 Depth=1
                                        ;     Parent Loop BB24_61 Depth=2
                                        ;       Parent Loop BB24_75 Depth=3
                                        ; =>      This Inner Loop Header: Depth=4
	s_and_b32 vcc_lo, exec_lo, s33
	s_cbranch_vccz .LBB24_80
; %bb.79:                               ;   in Loop: Header=BB24_78 Depth=4
	v_add_nc_u32_e32 v3, s44, v15
	v_mad_u64_u32 v[3:4], null, v3, s27, v[2:3]
	s_cbranch_execnz .LBB24_77
	s_branch .LBB24_81
	.p2align	6
.LBB24_80:                              ;   in Loop: Header=BB24_78 Depth=4
                                        ; implicit-def: $vgpr3
.LBB24_81:                              ;   in Loop: Header=BB24_78 Depth=4
	v_add_nc_u32_e32 v3, v7, v15
	s_branch .LBB24_77
.LBB24_82:                              ;   in Loop: Header=BB24_61 Depth=2
	s_inst_prefetch 0x2
	s_or_b32 exec_lo, exec_lo, s41
	s_waitcnt lgkmcnt(0)
	v_mul_lo_u32 v15, v5, s27
	v_mov_b32_e32 v16, v26
	v_mov_b32_e32 v2, v0
	s_mov_b32 s41, 0
	s_waitcnt_vscnt null, 0x0
	buffer_gl0_inv
	s_branch .LBB24_84
.LBB24_83:                              ;   in Loop: Header=BB24_84 Depth=3
	s_or_b32 exec_lo, exec_lo, s44
	v_add_nc_u32_e32 v2, 16, v2
	v_add_nc_u32_e32 v16, 0x100, v16
	v_cmp_le_i32_e32 vcc_lo, s27, v2
	s_or_b32 s41, vcc_lo, s41
	s_andn2_b32 exec_lo, exec_lo, s41
	s_cbranch_execz .LBB24_58
.LBB24_84:                              ;   Parent Loop BB24_12 Depth=1
                                        ;     Parent Loop BB24_61 Depth=2
                                        ; =>    This Loop Header: Depth=3
                                        ;         Child Loop BB24_87 Depth 4
                                        ;           Child Loop BB24_88 Depth 5
	s_and_saveexec_b32 s44, s6
	s_cbranch_execz .LBB24_83
; %bb.85:                               ;   in Loop: Header=BB24_84 Depth=3
	v_add_nc_u32_e32 v3, v2, v15
	v_mov_b32_e32 v29, v22
	v_mov_b32_e32 v30, v1
	s_mov_b32 s45, 0
	v_mul_lo_u32 v28, v3, s27
	s_branch .LBB24_87
.LBB24_86:                              ;   in Loop: Header=BB24_87 Depth=4
	v_ashrrev_i32_e32 v8, 31, v7
	v_add_nc_u32_e32 v30, 4, v30
	v_add_nc_u32_e32 v29, 0x440, v29
	v_lshlrev_b64 v[7:8], 4, v[7:8]
	v_add_co_u32 v7, vcc_lo, s16, v7
	v_add_co_ci_u32_e64 v8, null, s17, v8, vcc_lo
	v_cmp_le_i32_e32 vcc_lo, s27, v30
	global_load_dwordx4 v[31:34], v[7:8], off
	s_or_b32 s45, vcc_lo, s45
	s_waitcnt vmcnt(0)
	v_add_f64 v[3:4], v[31:32], -v[3:4]
	v_add_f64 v[5:6], v[33:34], -v[5:6]
	global_store_dwordx4 v[7:8], v[3:6], off
	s_andn2_b32 exec_lo, exec_lo, s45
	s_cbranch_execz .LBB24_83
.LBB24_87:                              ;   Parent Loop BB24_12 Depth=1
                                        ;     Parent Loop BB24_61 Depth=2
                                        ;       Parent Loop BB24_84 Depth=3
                                        ; =>      This Loop Header: Depth=4
                                        ;           Child Loop BB24_88 Depth 5
	v_mov_b32_e32 v3, 0
	v_mov_b32_e32 v5, 0
	;; [unrolled: 1-line block ×6, first 2 shown]
	s_mov_b32 s46, s27
	.p2align	6
.LBB24_88:                              ;   Parent Loop BB24_12 Depth=1
                                        ;     Parent Loop BB24_61 Depth=2
                                        ;       Parent Loop BB24_84 Depth=3
                                        ;         Parent Loop BB24_87 Depth=4
                                        ; =>        This Inner Loop Header: Depth=5
	ds_read_b128 v[31:34], v7
	ds_read_b128 v[35:38], v8
	v_add_nc_u32_e32 v8, 16, v8
	v_add_nc_u32_e32 v7, 0x110, v7
	s_add_i32 s46, s46, -1
	s_cmp_eq_u32 s46, 0
	s_waitcnt lgkmcnt(0)
	v_fma_f64 v[3:4], v[31:32], v[35:36], v[3:4]
	v_fma_f64 v[5:6], v[33:34], v[35:36], v[5:6]
	v_fma_f64 v[3:4], -v[33:34], v[37:38], v[3:4]
	v_fma_f64 v[5:6], v[31:32], v[37:38], v[5:6]
	s_cbranch_scc0 .LBB24_88
; %bb.89:                               ;   in Loop: Header=BB24_87 Depth=4
	s_and_b32 vcc_lo, exec_lo, s33
	s_cbranch_vccz .LBB24_91
; %bb.90:                               ;   in Loop: Header=BB24_87 Depth=4
	v_add_nc_u32_e32 v7, v30, v15
	v_mad_u64_u32 v[7:8], null, v7, s27, v[2:3]
	s_cbranch_execnz .LBB24_86
	s_branch .LBB24_92
.LBB24_91:                              ;   in Loop: Header=BB24_87 Depth=4
                                        ; implicit-def: $vgpr7
.LBB24_92:                              ;   in Loop: Header=BB24_87 Depth=4
	v_add_nc_u32_e32 v7, v30, v28
	s_branch .LBB24_86
.LBB24_93:
	s_ashr_i32 s35, s34, 31
	v_mov_b32_e32 v2, 0
	s_lshl_b64 s[4:5], s[34:35], 2
	s_add_u32 s4, s14, s4
	s_addc_u32 s5, s15, s5
	global_load_dword v2, v2, s[4:5]
	s_waitcnt vmcnt(0)
	v_subrev_nc_u32_e32 v2, s28, v2
	v_cmp_ne_u32_e32 vcc_lo, s26, v2
	s_cbranch_vccnz .LBB24_105
; %bb.94:
	v_cmp_gt_i32_e64 s4, s27, v0
	s_and_saveexec_b32 s6, s4
	s_cbranch_execz .LBB24_106
; %bb.95:
	s_mul_i32 s7, s34, s27
	v_lshlrev_b32_e32 v3, 4, v0
	v_add_nc_u32_e32 v2, s7, v0
	v_cmp_gt_u32_e64 s5, s27, v1
	s_cmp_lg_u32 s36, 0
	s_mov_b32 s8, 0
	v_mad_u32_u24 v6, 0x110, v1, v3
	v_mul_lo_u32 v5, s27, v2
	v_mov_b32_e32 v2, v0
	s_cselect_b32 s10, -1, 0
	s_lshl_b32 s11, s27, 4
	s_inst_prefetch 0x1
	s_branch .LBB24_97
	.p2align	6
.LBB24_96:                              ;   in Loop: Header=BB24_97 Depth=1
	s_or_b32 exec_lo, exec_lo, s12
	v_add_nc_u32_e32 v2, 16, v2
	v_add_nc_u32_e32 v5, s11, v5
	;; [unrolled: 1-line block ×3, first 2 shown]
	v_cmp_le_i32_e32 vcc_lo, s27, v2
	s_or_b32 s8, vcc_lo, s8
	s_andn2_b32 exec_lo, exec_lo, s8
	s_cbranch_execz .LBB24_106
.LBB24_97:                              ; =>This Loop Header: Depth=1
                                        ;     Child Loop BB24_100 Depth 2
	s_and_saveexec_b32 s12, s5
	s_cbranch_execz .LBB24_96
; %bb.98:                               ;   in Loop: Header=BB24_97 Depth=1
	v_mov_b32_e32 v7, v6
	v_mov_b32_e32 v8, v1
	s_mov_b32 s13, 0
	s_branch .LBB24_100
	.p2align	6
.LBB24_99:                              ;   in Loop: Header=BB24_100 Depth=2
	v_ashrrev_i32_e32 v4, 31, v3
	v_add_nc_u32_e32 v8, 4, v8
	v_lshlrev_b64 v[3:4], 4, v[3:4]
	v_add_co_u32 v3, vcc_lo, s16, v3
	v_add_co_ci_u32_e64 v4, null, s17, v4, vcc_lo
	v_cmp_le_i32_e32 vcc_lo, s27, v8
	global_load_dwordx4 v[12:15], v[3:4], off
	s_or_b32 s13, vcc_lo, s13
	s_waitcnt vmcnt(0)
	ds_write2_b64 v7, v[12:13], v[14:15] offset1:1
	v_add_nc_u32_e32 v7, 0x440, v7
	s_andn2_b32 exec_lo, exec_lo, s13
	s_cbranch_execz .LBB24_96
.LBB24_100:                             ;   Parent Loop BB24_97 Depth=1
                                        ; =>  This Inner Loop Header: Depth=2
	s_and_b32 vcc_lo, exec_lo, s10
	s_cbranch_vccz .LBB24_102
; %bb.101:                              ;   in Loop: Header=BB24_100 Depth=2
	v_add_nc_u32_e32 v3, s7, v8
	v_mad_u64_u32 v[3:4], null, v3, s27, v[2:3]
	s_cbranch_execnz .LBB24_99
	s_branch .LBB24_103
	.p2align	6
.LBB24_102:                             ;   in Loop: Header=BB24_100 Depth=2
                                        ; implicit-def: $vgpr3
.LBB24_103:                             ;   in Loop: Header=BB24_100 Depth=2
	v_add_nc_u32_e32 v3, v5, v8
	s_branch .LBB24_99
.LBB24_104:
	s_mov_b32 s8, -1
	s_branch .LBB24_196
.LBB24_105:
	s_mov_b32 s8, s9
	s_add_i32 s9, s34, 1
	s_cmp_ge_i32 s9, s29
	s_cbranch_scc0 .LBB24_145
	s_branch .LBB24_196
.LBB24_106:
	s_inst_prefetch 0x2
	s_or_b32 exec_lo, exec_lo, s6
	s_cmp_lt_i32 s27, 1
	s_waitcnt lgkmcnt(0)
	s_waitcnt_vscnt null, 0x0
	buffer_gl0_inv
	s_cbranch_scc1 .LBB24_134
; %bb.107:
	v_cvt_f64_f32_e32 v[2:3], v18
	v_or_b32_e32 v4, v0, v1
	v_mul_u32_u24_e32 v5, 0x110, v1
	v_lshlrev_b32_e32 v6, 4, v0
	s_cmp_eq_u64 s[20:21], 8
	v_cmp_eq_u32_e64 s5, 0, v1
	s_cselect_b32 vcc_lo, -1, 0
	v_mad_u32_u24 v14, 0x110, v1, 0x110
	v_mov_b32_e32 v18, 0
	v_cmp_eq_u32_e64 s6, 0, v4
	v_add3_u32 v15, v5, v6, 0x120
	v_mov_b32_e32 v16, 0
	s_mov_b32 s10, 0
                                        ; implicit-def: $sgpr8
	v_cndmask_b32_e32 v7, v3, v11, vcc_lo
	v_cndmask_b32_e32 v6, v2, v10, vcc_lo
	s_branch .LBB24_109
.LBB24_108:                             ;   in Loop: Header=BB24_109 Depth=1
	s_or_b32 exec_lo, exec_lo, s7
	v_cmp_eq_u32_e32 vcc_lo, s27, v8
	v_add_nc_u32_e32 v15, 0x120, v15
	v_add_nc_u32_e32 v14, 0x120, v14
	v_mov_b32_e32 v18, v8
	s_or_b32 s10, vcc_lo, s10
	s_andn2_b32 s7, s8, exec_lo
	s_and_b32 s8, s9, exec_lo
	s_or_b32 s8, s7, s8
	s_andn2_b32 exec_lo, exec_lo, s10
	s_cbranch_execz .LBB24_133
.LBB24_109:                             ; =>This Loop Header: Depth=1
                                        ;     Child Loop BB24_126 Depth 2
                                        ;       Child Loop BB24_130 Depth 3
	v_mul_lo_u32 v19, 0x110, v18
	v_cmp_ne_u32_e32 vcc_lo, 1, v17
	s_mov_b32 s7, -1
	s_mov_b32 s12, 0
	s_and_b32 vcc_lo, exec_lo, vcc_lo
	v_lshl_add_u32 v20, v18, 4, v19
	ds_read2_b64 v[2:5], v20 offset1:1
	s_waitcnt lgkmcnt(0)
	buffer_store_dword v5, off, s[0:3], 0 offset:28
	buffer_store_dword v4, off, s[0:3], 0 offset:24
	;; [unrolled: 1-line block ×4, first 2 shown]
	s_cbranch_vccz .LBB24_113
; %bb.110:                              ;   in Loop: Header=BB24_109 Depth=1
	s_and_b32 vcc_lo, exec_lo, s7
	s_mov_b32 s11, 0
	s_cbranch_vccnz .LBB24_122
.LBB24_111:                             ;   in Loop: Header=BB24_109 Depth=1
                                        ; implicit-def: $vgpr8
	s_and_saveexec_b32 s7, s12
	s_xor_b32 s12, exec_lo, s7
	s_cbranch_execnz .LBB24_123
.LBB24_112:                             ;   in Loop: Header=BB24_109 Depth=1
	s_or_b32 exec_lo, exec_lo, s12
	s_and_saveexec_b32 s7, s11
	s_cbranch_execz .LBB24_108
	s_branch .LBB24_132
.LBB24_113:                             ;   in Loop: Header=BB24_109 Depth=1
	v_cmp_gt_f64_e32 vcc_lo, 0, v[2:3]
	v_xor_b32_e32 v9, 0x80000000, v3
	v_xor_b32_e32 v10, 0x80000000, v5
	v_mov_b32_e32 v8, v2
	s_mov_b32 s7, exec_lo
                                        ; implicit-def: $vgpr12_vgpr13
	v_cndmask_b32_e32 v9, v3, v9, vcc_lo
	v_cmp_gt_f64_e32 vcc_lo, 0, v[4:5]
	v_cndmask_b32_e32 v11, v5, v10, vcc_lo
	v_mov_b32_e32 v10, v4
	v_cmpx_ngt_f64_e32 v[8:9], v[10:11]
	s_xor_b32 s7, exec_lo, s7
	s_cbranch_execz .LBB24_117
; %bb.114:                              ;   in Loop: Header=BB24_109 Depth=1
	v_mov_b32_e32 v12, 0
	v_mov_b32_e32 v13, 0
	s_mov_b32 s11, exec_lo
	v_cmpx_neq_f64_e32 0, v[4:5]
	s_cbranch_execz .LBB24_116
; %bb.115:                              ;   in Loop: Header=BB24_109 Depth=1
	v_div_scale_f64 v[12:13], null, v[10:11], v[10:11], v[8:9]
	v_div_scale_f64 v[25:26], vcc_lo, v[8:9], v[10:11], v[8:9]
	v_rcp_f64_e32 v[21:22], v[12:13]
	v_fma_f64 v[23:24], -v[12:13], v[21:22], 1.0
	v_fma_f64 v[21:22], v[21:22], v[23:24], v[21:22]
	v_fma_f64 v[23:24], -v[12:13], v[21:22], 1.0
	v_fma_f64 v[21:22], v[21:22], v[23:24], v[21:22]
	v_mul_f64 v[23:24], v[25:26], v[21:22]
	v_fma_f64 v[12:13], -v[12:13], v[23:24], v[25:26]
	v_div_fmas_f64 v[12:13], v[12:13], v[21:22], v[23:24]
	v_div_fixup_f64 v[8:9], v[12:13], v[10:11], v[8:9]
	v_fma_f64 v[8:9], v[8:9], v[8:9], 1.0
	v_cmp_gt_f64_e32 vcc_lo, 0x10000000, v[8:9]
	v_cndmask_b32_e64 v12, 0, 0x100, vcc_lo
	v_ldexp_f64 v[8:9], v[8:9], v12
	v_rsq_f64_e32 v[12:13], v[8:9]
	v_mul_f64 v[21:22], v[8:9], v[12:13]
	v_mul_f64 v[12:13], v[12:13], 0.5
	v_fma_f64 v[23:24], -v[12:13], v[21:22], 0.5
	v_fma_f64 v[21:22], v[21:22], v[23:24], v[21:22]
	v_fma_f64 v[12:13], v[12:13], v[23:24], v[12:13]
	v_fma_f64 v[23:24], -v[21:22], v[21:22], v[8:9]
	v_fma_f64 v[21:22], v[23:24], v[12:13], v[21:22]
	v_fma_f64 v[23:24], -v[21:22], v[21:22], v[8:9]
	v_fma_f64 v[12:13], v[23:24], v[12:13], v[21:22]
	v_cndmask_b32_e64 v21, 0, 0xffffff80, vcc_lo
	v_cmp_class_f64_e64 vcc_lo, v[8:9], 0x260
	v_ldexp_f64 v[12:13], v[12:13], v21
	v_cndmask_b32_e32 v9, v13, v9, vcc_lo
	v_cndmask_b32_e32 v8, v12, v8, vcc_lo
	v_mul_f64 v[12:13], v[10:11], v[8:9]
.LBB24_116:                             ;   in Loop: Header=BB24_109 Depth=1
	s_or_b32 exec_lo, exec_lo, s11
                                        ; implicit-def: $vgpr8_vgpr9
                                        ; implicit-def: $vgpr10_vgpr11
.LBB24_117:                             ;   in Loop: Header=BB24_109 Depth=1
	s_andn2_saveexec_b32 s7, s7
	s_cbranch_execz .LBB24_119
; %bb.118:                              ;   in Loop: Header=BB24_109 Depth=1
	v_div_scale_f64 v[12:13], null, v[8:9], v[8:9], v[10:11]
	v_div_scale_f64 v[25:26], vcc_lo, v[10:11], v[8:9], v[10:11]
	v_rcp_f64_e32 v[21:22], v[12:13]
	v_fma_f64 v[23:24], -v[12:13], v[21:22], 1.0
	v_fma_f64 v[21:22], v[21:22], v[23:24], v[21:22]
	v_fma_f64 v[23:24], -v[12:13], v[21:22], 1.0
	v_fma_f64 v[21:22], v[21:22], v[23:24], v[21:22]
	v_mul_f64 v[23:24], v[25:26], v[21:22]
	v_fma_f64 v[12:13], -v[12:13], v[23:24], v[25:26]
	v_div_fmas_f64 v[12:13], v[12:13], v[21:22], v[23:24]
	v_div_fixup_f64 v[10:11], v[12:13], v[8:9], v[10:11]
	v_fma_f64 v[10:11], v[10:11], v[10:11], 1.0
	v_cmp_gt_f64_e32 vcc_lo, 0x10000000, v[10:11]
	v_cndmask_b32_e64 v12, 0, 0x100, vcc_lo
	v_ldexp_f64 v[10:11], v[10:11], v12
	v_rsq_f64_e32 v[12:13], v[10:11]
	v_mul_f64 v[21:22], v[10:11], v[12:13]
	v_mul_f64 v[12:13], v[12:13], 0.5
	v_fma_f64 v[23:24], -v[12:13], v[21:22], 0.5
	v_fma_f64 v[21:22], v[21:22], v[23:24], v[21:22]
	v_fma_f64 v[12:13], v[12:13], v[23:24], v[12:13]
	v_fma_f64 v[23:24], -v[21:22], v[21:22], v[10:11]
	v_fma_f64 v[21:22], v[23:24], v[12:13], v[21:22]
	v_fma_f64 v[23:24], -v[21:22], v[21:22], v[10:11]
	v_fma_f64 v[12:13], v[23:24], v[12:13], v[21:22]
	v_cndmask_b32_e64 v21, 0, 0xffffff80, vcc_lo
	v_cmp_class_f64_e64 vcc_lo, v[10:11], 0x260
	v_ldexp_f64 v[12:13], v[12:13], v21
	v_cndmask_b32_e32 v11, v13, v11, vcc_lo
	v_cndmask_b32_e32 v10, v12, v10, vcc_lo
	v_mul_f64 v[12:13], v[8:9], v[10:11]
.LBB24_119:                             ;   in Loop: Header=BB24_109 Depth=1
	s_or_b32 exec_lo, exec_lo, s7
	v_cmp_ge_f64_e32 vcc_lo, v[6:7], v[12:13]
	v_cndmask_b32_e32 v8, 16, v16, vcc_lo
	s_clause 0x3
	buffer_load_dword v9, v8, s[0:3], 0 offen
	buffer_load_dword v10, v8, s[0:3], 0 offen offset:4
	buffer_load_dword v11, v8, s[0:3], 0 offen offset:8
	;; [unrolled: 1-line block ×3, first 2 shown]
	s_waitcnt vmcnt(3)
	buffer_store_dword v9, off, s[0:3], 0 offset:16
	s_waitcnt vmcnt(2)
	buffer_store_dword v10, off, s[0:3], 0 offset:20
	s_waitcnt vmcnt(1)
	buffer_store_dword v11, off, s[0:3], 0 offset:24
	s_waitcnt vmcnt(0)
	buffer_store_dword v8, off, s[0:3], 0 offset:28
	s_waitcnt_vscnt null, 0x0
	buffer_gl0_inv
	s_and_saveexec_b32 s7, s6
	s_cbranch_execz .LBB24_121
; %bb.120:                              ;   in Loop: Header=BB24_109 Depth=1
	s_clause 0x3
	buffer_load_dword v8, off, s[0:3], 0 offset:16
	buffer_load_dword v9, off, s[0:3], 0 offset:20
	;; [unrolled: 1-line block ×4, first 2 shown]
	s_waitcnt vmcnt(0)
	ds_write2_b64 v20, v[8:9], v[10:11] offset1:1
.LBB24_121:                             ;   in Loop: Header=BB24_109 Depth=1
	s_or_b32 exec_lo, exec_lo, s7
	s_mov_b32 s12, -1
	s_mov_b32 s11, 0
	s_branch .LBB24_111
.LBB24_122:                             ;   in Loop: Header=BB24_109 Depth=1
	v_cmp_neq_f64_e32 vcc_lo, 0, v[2:3]
	v_cmp_neq_f64_e64 s7, 0, v[4:5]
	s_andn2_b32 s12, s12, exec_lo
	s_mov_b32 s11, -1
	s_or_b32 s7, vcc_lo, s7
	s_and_b32 s7, s7, exec_lo
	s_or_b32 s12, s12, s7
                                        ; implicit-def: $vgpr8
	s_and_saveexec_b32 s7, s12
	s_xor_b32 s12, exec_lo, s7
	s_cbranch_execz .LBB24_112
.LBB24_123:                             ;   in Loop: Header=BB24_109 Depth=1
	v_add_nc_u32_e32 v8, 1, v18
	s_mov_b32 s13, exec_lo
	v_add_nc_u32_e32 v9, v8, v0
	v_cmpx_gt_i32_e64 s27, v9
	s_cbranch_execz .LBB24_131
; %bb.124:                              ;   in Loop: Header=BB24_109 Depth=1
	v_add_nc_u32_e32 v10, v8, v1
	v_mov_b32_e32 v11, v15
	s_mov_b32 s14, 0
	v_cmp_gt_i32_e64 s7, s27, v10
	s_branch .LBB24_126
.LBB24_125:                             ;   in Loop: Header=BB24_126 Depth=2
	s_or_b32 exec_lo, exec_lo, s15
	v_add_nc_u32_e32 v9, 16, v9
	v_add_nc_u32_e32 v11, 0x100, v11
	v_cmp_le_i32_e32 vcc_lo, s27, v9
	s_or_b32 s14, vcc_lo, s14
	s_andn2_b32 exec_lo, exec_lo, s14
	s_cbranch_execz .LBB24_131
.LBB24_126:                             ;   Parent Loop BB24_109 Depth=1
                                        ; =>  This Loop Header: Depth=2
                                        ;       Child Loop BB24_130 Depth 3
	s_clause 0x3
	buffer_load_dword v20, off, s[0:3], 0 offset:24
	buffer_load_dword v21, off, s[0:3], 0 offset:28
	;; [unrolled: 1-line block ×4, first 2 shown]
	v_lshl_add_u32 v12, v9, 4, v19
	s_waitcnt vmcnt(2)
	v_mul_f64 v[2:3], v[20:21], v[20:21]
	s_waitcnt vmcnt(0)
	v_fma_f64 v[24:25], v[22:23], v[22:23], v[2:3]
	v_div_scale_f64 v[26:27], null, v[24:25], v[24:25], 1.0
	v_div_scale_f64 v[28:29], vcc_lo, 1.0, v[24:25], 1.0
	v_rcp_f64_e32 v[2:3], v[26:27]
	v_fma_f64 v[4:5], -v[26:27], v[2:3], 1.0
	v_fma_f64 v[2:3], v[2:3], v[4:5], v[2:3]
	v_fma_f64 v[4:5], -v[26:27], v[2:3], 1.0
	v_fma_f64 v[30:31], v[2:3], v[4:5], v[2:3]
	ds_read_b128 v[2:5], v12
	s_waitcnt lgkmcnt(0)
	s_waitcnt_vscnt null, 0x0
	buffer_gl0_inv
	v_mul_f64 v[32:33], v[28:29], v[30:31]
	v_fma_f64 v[26:27], -v[26:27], v[32:33], v[28:29]
	v_mul_f64 v[28:29], v[4:5], v[20:21]
	v_mul_f64 v[20:21], v[20:21], -v[2:3]
	v_div_fmas_f64 v[26:27], v[26:27], v[30:31], v[32:33]
	v_fma_f64 v[2:3], v[2:3], v[22:23], v[28:29]
	v_fma_f64 v[4:5], v[4:5], v[22:23], v[20:21]
	v_div_fixup_f64 v[24:25], v[26:27], v[24:25], 1.0
	v_mul_f64 v[2:3], v[2:3], v[24:25]
	v_mul_f64 v[4:5], v[4:5], v[24:25]
	s_and_saveexec_b32 s15, s5
; %bb.127:                              ;   in Loop: Header=BB24_126 Depth=2
	ds_write_b128 v12, v[2:5]
; %bb.128:                              ;   in Loop: Header=BB24_126 Depth=2
	s_or_b32 exec_lo, exec_lo, s15
	s_and_saveexec_b32 s15, s7
	s_cbranch_execz .LBB24_125
; %bb.129:                              ;   in Loop: Header=BB24_126 Depth=2
	v_mov_b32_e32 v12, v14
	v_mov_b32_e32 v13, v11
	;; [unrolled: 1-line block ×3, first 2 shown]
	s_mov_b32 s18, 0
	.p2align	6
.LBB24_130:                             ;   Parent Loop BB24_109 Depth=1
                                        ;     Parent Loop BB24_126 Depth=2
                                        ; =>    This Inner Loop Header: Depth=3
	ds_read_b128 v[21:24], v12
	ds_read_b128 v[25:28], v13
	v_add_nc_u32_e32 v20, 4, v20
	v_add_nc_u32_e32 v12, 0x440, v12
	v_cmp_le_i32_e32 vcc_lo, s27, v20
	s_or_b32 s18, vcc_lo, s18
	s_waitcnt lgkmcnt(0)
	v_fma_f64 v[25:26], -v[2:3], v[21:22], v[25:26]
	v_fma_f64 v[27:28], -v[4:5], v[21:22], v[27:28]
	v_fma_f64 v[21:22], v[4:5], v[23:24], v[25:26]
	v_fma_f64 v[23:24], -v[2:3], v[23:24], v[27:28]
	ds_write_b128 v13, v[21:24]
	v_add_nc_u32_e32 v13, 0x440, v13
	s_andn2_b32 exec_lo, exec_lo, s18
	s_cbranch_execnz .LBB24_130
	s_branch .LBB24_125
.LBB24_131:                             ;   in Loop: Header=BB24_109 Depth=1
	s_or_b32 exec_lo, exec_lo, s13
	s_andn2_b32 s11, s11, exec_lo
	s_or_b32 exec_lo, exec_lo, s12
	s_and_saveexec_b32 s7, s11
	s_cbranch_execz .LBB24_108
.LBB24_132:                             ;   in Loop: Header=BB24_109 Depth=1
	v_add_nc_u32_e32 v8, 1, v18
	s_or_b32 s9, s9, exec_lo
	s_branch .LBB24_108
.LBB24_133:
	s_or_b32 exec_lo, exec_lo, s10
	s_waitcnt lgkmcnt(0)
	s_waitcnt_vscnt null, 0x0
	buffer_gl0_inv
	s_and_saveexec_b32 s6, s4
	s_cbranch_execnz .LBB24_135
	s_branch .LBB24_144
.LBB24_134:
	s_mov_b32 s8, s9
	buffer_gl0_inv
	s_and_saveexec_b32 s6, s4
	s_cbranch_execz .LBB24_144
.LBB24_135:
	s_mul_i32 s7, s34, s27
	v_lshlrev_b32_e32 v3, 4, v0
	v_add_nc_u32_e32 v2, s7, v0
	v_cmp_gt_u32_e64 s4, s27, v1
	s_cmp_lg_u32 s36, 0
	s_mov_b32 s9, 0
	v_mad_u32_u24 v6, 0x110, v1, v3
	v_mul_lo_u32 v5, s27, v2
	v_mov_b32_e32 v2, v0
	s_cselect_b32 s10, -1, 0
	s_lshl_b32 s11, s27, 4
	s_inst_prefetch 0x1
	s_branch .LBB24_137
	.p2align	6
.LBB24_136:                             ;   in Loop: Header=BB24_137 Depth=1
	s_or_b32 exec_lo, exec_lo, s12
	v_add_nc_u32_e32 v2, 16, v2
	v_add_nc_u32_e32 v5, s11, v5
	;; [unrolled: 1-line block ×3, first 2 shown]
	v_cmp_le_i32_e32 vcc_lo, s27, v2
	s_or_b32 s9, vcc_lo, s9
	s_andn2_b32 exec_lo, exec_lo, s9
	s_cbranch_execz .LBB24_144
.LBB24_137:                             ; =>This Loop Header: Depth=1
                                        ;     Child Loop BB24_140 Depth 2
	s_and_saveexec_b32 s12, s4
	s_cbranch_execz .LBB24_136
; %bb.138:                              ;   in Loop: Header=BB24_137 Depth=1
	v_mov_b32_e32 v7, v6
	v_mov_b32_e32 v8, v1
	s_mov_b32 s13, 0
	s_branch .LBB24_140
	.p2align	6
.LBB24_139:                             ;   in Loop: Header=BB24_140 Depth=2
	ds_read2_b64 v[9:12], v7 offset1:1
	v_ashrrev_i32_e32 v4, 31, v3
	v_add_nc_u32_e32 v8, 4, v8
	v_add_nc_u32_e32 v7, 0x440, v7
	v_lshlrev_b64 v[3:4], 4, v[3:4]
	v_cmp_le_i32_e32 vcc_lo, s27, v8
	s_or_b32 s13, vcc_lo, s13
	v_add_co_u32 v3, s5, s16, v3
	v_add_co_ci_u32_e64 v4, null, s17, v4, s5
	s_waitcnt lgkmcnt(0)
	global_store_dwordx4 v[3:4], v[9:12], off
	s_andn2_b32 exec_lo, exec_lo, s13
	s_cbranch_execz .LBB24_136
.LBB24_140:                             ;   Parent Loop BB24_137 Depth=1
                                        ; =>  This Inner Loop Header: Depth=2
	s_and_b32 vcc_lo, exec_lo, s10
	s_cbranch_vccz .LBB24_142
; %bb.141:                              ;   in Loop: Header=BB24_140 Depth=2
	v_add_nc_u32_e32 v3, s7, v8
	v_mad_u64_u32 v[3:4], null, v3, s27, v[2:3]
	s_cbranch_execnz .LBB24_139
	s_branch .LBB24_143
	.p2align	6
.LBB24_142:                             ;   in Loop: Header=BB24_140 Depth=2
                                        ; implicit-def: $vgpr3
.LBB24_143:                             ;   in Loop: Header=BB24_140 Depth=2
	v_add_nc_u32_e32 v3, v5, v8
	s_branch .LBB24_139
.LBB24_144:
	s_inst_prefetch 0x2
	s_or_b32 exec_lo, exec_lo, s6
	s_add_i32 s9, s34, 1
	s_cmp_ge_i32 s9, s29
	s_cbranch_scc1 .LBB24_196
.LBB24_145:
	v_mad_u64_u32 v[2:3], null, s27, s9, v[0:1]
	v_lshlrev_b32_e32 v3, 4, v1
	s_cmp_lg_u32 s36, 0
	v_mul_u32_u24_e32 v4, 0x110, v1
	s_cselect_b32 s10, -1, 0
	s_cmp_gt_i32 s27, 0
	v_lshlrev_b32_e32 v5, 4, v0
	s_cselect_b32 s11, -1, 0
	s_cmp_lg_u32 s27, 1
	v_mad_u32_u24 v11, 0x110, v0, v3
	s_cselect_b32 s12, -1, 0
	s_and_b32 s13, s27, 0x7ffffffe
	s_bitcmp1_b32 s27, 0
	s_movk_i32 s7, 0x1110
	v_cmp_gt_i32_e64 s4, s27, v0
	v_cmp_le_i32_e64 s5, s27, v0
	v_cmp_gt_i32_e64 s6, s27, v1
	v_add_nc_u32_e32 v6, 1, v1
	v_mul_lo_u32 v7, s27, v2
	v_add3_u32 v8, v4, v5, 0x1100
	v_add_nc_u32_e32 v9, 0x1110, v11
	v_add_nc_u32_e32 v2, 16, v3
	;; [unrolled: 1-line block ×4, first 2 shown]
	v_mad_u32_u24 v12, 0x110, v0, s7
	s_cselect_b32 s14, -1, 0
	s_mul_i32 s15, s27, s27
	s_lshl_b32 s18, s27, 4
	s_branch .LBB24_148
.LBB24_146:                             ;   in Loop: Header=BB24_148 Depth=1
	s_inst_prefetch 0x2
	s_or_b32 exec_lo, exec_lo, s20
.LBB24_147:                             ;   in Loop: Header=BB24_148 Depth=1
	s_or_b32 exec_lo, exec_lo, s19
	v_add_nc_u32_e32 v7, s15, v7
	s_add_i32 s9, s9, 1
	s_cmp_ge_i32 s9, s29
	s_cbranch_scc1 .LBB24_196
.LBB24_148:                             ; =>This Loop Header: Depth=1
                                        ;     Child Loop BB24_151 Depth 2
                                        ;       Child Loop BB24_154 Depth 3
                                        ;     Child Loop BB24_162 Depth 2
                                        ;       Child Loop BB24_165 Depth 3
                                        ;         Child Loop BB24_167 Depth 4
                                        ;       Child Loop BB24_170 Depth 3
                                        ;         Child Loop BB24_172 Depth 4
                                        ;     Child Loop BB24_179 Depth 2
                                        ;       Child Loop BB24_181 Depth 3
                                        ;     Child Loop BB24_189 Depth 2
                                        ;       Child Loop BB24_192 Depth 3
	s_waitcnt lgkmcnt(0)
	s_waitcnt_vscnt null, 0x0
	buffer_gl0_inv
	s_and_saveexec_b32 s7, s4
	s_cbranch_execz .LBB24_158
; %bb.149:                              ;   in Loop: Header=BB24_148 Depth=1
	v_mov_b32_e32 v13, v8
	v_mov_b32_e32 v14, v7
	;; [unrolled: 1-line block ×3, first 2 shown]
	s_mul_i32 s19, s9, s27
	s_mov_b32 s20, 0
	s_inst_prefetch 0x1
	s_branch .LBB24_151
	.p2align	6
.LBB24_150:                             ;   in Loop: Header=BB24_151 Depth=2
	s_or_b32 exec_lo, exec_lo, s21
	v_add_nc_u32_e32 v3, 16, v3
	v_add_nc_u32_e32 v14, s18, v14
	;; [unrolled: 1-line block ×3, first 2 shown]
	v_cmp_le_i32_e32 vcc_lo, s27, v3
	s_or_b32 s20, vcc_lo, s20
	s_andn2_b32 exec_lo, exec_lo, s20
	s_cbranch_execz .LBB24_158
.LBB24_151:                             ;   Parent Loop BB24_148 Depth=1
                                        ; =>  This Loop Header: Depth=2
                                        ;       Child Loop BB24_154 Depth 3
	s_and_saveexec_b32 s21, s6
	s_cbranch_execz .LBB24_150
; %bb.152:                              ;   in Loop: Header=BB24_151 Depth=2
	v_mov_b32_e32 v15, v13
	v_mov_b32_e32 v16, v1
	s_mov_b32 s33, 0
	s_branch .LBB24_154
	.p2align	6
.LBB24_153:                             ;   in Loop: Header=BB24_154 Depth=3
	v_ashrrev_i32_e32 v5, 31, v4
	v_add_nc_u32_e32 v16, 4, v16
	v_lshlrev_b64 v[4:5], 4, v[4:5]
	v_add_co_u32 v4, vcc_lo, s16, v4
	v_add_co_ci_u32_e64 v5, null, s17, v5, vcc_lo
	v_cmp_le_i32_e32 vcc_lo, s27, v16
	global_load_dwordx4 v[17:20], v[4:5], off
	s_or_b32 s33, vcc_lo, s33
	s_waitcnt vmcnt(0)
	ds_write2_b64 v15, v[17:18], v[19:20] offset1:1
	v_add_nc_u32_e32 v15, 0x440, v15
	s_andn2_b32 exec_lo, exec_lo, s33
	s_cbranch_execz .LBB24_150
.LBB24_154:                             ;   Parent Loop BB24_148 Depth=1
                                        ;     Parent Loop BB24_151 Depth=2
                                        ; =>    This Inner Loop Header: Depth=3
	s_and_b32 vcc_lo, exec_lo, s10
	s_cbranch_vccz .LBB24_156
; %bb.155:                              ;   in Loop: Header=BB24_154 Depth=3
	v_add_nc_u32_e32 v4, s19, v16
	v_mad_u64_u32 v[4:5], null, v4, s27, v[3:4]
	s_cbranch_execnz .LBB24_153
	s_branch .LBB24_157
	.p2align	6
.LBB24_156:                             ;   in Loop: Header=BB24_154 Depth=3
                                        ; implicit-def: $vgpr4
.LBB24_157:                             ;   in Loop: Header=BB24_154 Depth=3
	v_add_nc_u32_e32 v4, v14, v16
	s_branch .LBB24_153
.LBB24_158:                             ;   in Loop: Header=BB24_148 Depth=1
	s_inst_prefetch 0x2
	s_or_b32 exec_lo, exec_lo, s7
	s_andn2_b32 vcc_lo, exec_lo, s11
	s_waitcnt lgkmcnt(0)
	buffer_gl0_inv
	s_cbranch_vccnz .LBB24_182
; %bb.159:                              ;   in Loop: Header=BB24_148 Depth=1
	s_andn2_b32 vcc_lo, exec_lo, s12
	s_mov_b32 s7, 0
	s_cbranch_vccnz .LBB24_173
; %bb.160:                              ;   in Loop: Header=BB24_148 Depth=1
	v_mov_b32_e32 v3, v11
	v_mov_b32_e32 v4, v10
	;; [unrolled: 1-line block ×4, first 2 shown]
	s_mov_b32 s19, 0
	s_branch .LBB24_162
.LBB24_161:                             ;   in Loop: Header=BB24_162 Depth=2
	s_inst_prefetch 0x2
	s_or_b32 exec_lo, exec_lo, s20
	v_add_nc_u32_e32 v13, 32, v13
	v_add_nc_u32_e32 v5, 0x240, v5
	;; [unrolled: 1-line block ×4, first 2 shown]
	s_add_i32 s19, s19, 2
	s_mov_b32 s7, s13
	s_cmp_eq_u32 s19, s13
	s_cbranch_scc1 .LBB24_173
.LBB24_162:                             ;   Parent Loop BB24_148 Depth=1
                                        ; =>  This Loop Header: Depth=2
                                        ;       Child Loop BB24_165 Depth 3
                                        ;         Child Loop BB24_167 Depth 4
                                        ;       Child Loop BB24_170 Depth 3
                                        ;         Child Loop BB24_172 Depth 4
	s_and_saveexec_b32 s20, s4
	s_cbranch_execz .LBB24_161
; %bb.163:                              ;   in Loop: Header=BB24_162 Depth=2
	v_add_nc_u32_e32 v14, s19, v6
	v_mov_b32_e32 v15, v13
	v_mov_b32_e32 v16, v0
	s_mov_b32 s33, 0
	s_lshl_b32 s21, s19, 4
	v_cmp_gt_i32_e32 vcc_lo, s27, v14
	s_inst_prefetch 0x1
	s_branch .LBB24_165
	.p2align	6
.LBB24_164:                             ;   in Loop: Header=BB24_165 Depth=3
	s_or_b32 exec_lo, exec_lo, s34
	v_add_nc_u32_e32 v16, 16, v16
	v_add_nc_u32_e32 v15, 0x1100, v15
	v_cmp_le_i32_e64 s7, s27, v16
	s_or_b32 s33, s7, s33
	s_andn2_b32 exec_lo, exec_lo, s33
	s_cbranch_execz .LBB24_168
.LBB24_165:                             ;   Parent Loop BB24_148 Depth=1
                                        ;     Parent Loop BB24_162 Depth=2
                                        ; =>    This Loop Header: Depth=3
                                        ;         Child Loop BB24_167 Depth 4
	s_and_saveexec_b32 s34, vcc_lo
	s_cbranch_execz .LBB24_164
; %bb.166:                              ;   in Loop: Header=BB24_165 Depth=3
	v_mul_lo_u32 v19, 0x110, v16
	v_mov_b32_e32 v17, v5
	v_mov_b32_e32 v18, v15
	;; [unrolled: 1-line block ×3, first 2 shown]
	s_mov_b32 s35, 0
	v_add3_u32 v19, 0x1100, s21, v19
	.p2align	6
.LBB24_167:                             ;   Parent Loop BB24_148 Depth=1
                                        ;     Parent Loop BB24_162 Depth=2
                                        ;       Parent Loop BB24_165 Depth=3
                                        ; =>      This Inner Loop Header: Depth=4
	ds_read_b128 v[21:24], v17
	ds_read_b128 v[25:28], v19
	;; [unrolled: 1-line block ×3, first 2 shown]
	v_add_nc_u32_e32 v20, 4, v20
	v_add_nc_u32_e32 v17, 64, v17
	v_cmp_le_i32_e64 s7, s27, v20
	s_or_b32 s35, s7, s35
	s_waitcnt lgkmcnt(0)
	v_fma_f64 v[29:30], -v[21:22], v[25:26], v[29:30]
	v_fma_f64 v[25:26], -v[23:24], v[25:26], v[31:32]
	v_fma_f64 v[23:24], v[23:24], v[27:28], v[29:30]
	v_fma_f64 v[25:26], -v[21:22], v[27:28], v[25:26]
	ds_write_b128 v18, v[23:26]
	v_add_nc_u32_e32 v18, 64, v18
	s_andn2_b32 exec_lo, exec_lo, s35
	s_cbranch_execnz .LBB24_167
	s_branch .LBB24_164
.LBB24_168:                             ;   in Loop: Header=BB24_162 Depth=2
	s_inst_prefetch 0x2
	s_or_b32 exec_lo, exec_lo, s33
	v_add3_u32 v14, v6, s19, 1
	v_mov_b32_e32 v15, v3
	v_mov_b32_e32 v16, v0
	s_mov_b32 s33, 0
	v_cmp_gt_i32_e32 vcc_lo, s27, v14
	s_inst_prefetch 0x1
	s_branch .LBB24_170
	.p2align	6
.LBB24_169:                             ;   in Loop: Header=BB24_170 Depth=3
	s_or_b32 exec_lo, exec_lo, s34
	v_add_nc_u32_e32 v16, 16, v16
	v_add_nc_u32_e32 v15, 0x1100, v15
	v_cmp_le_i32_e64 s7, s27, v16
	s_or_b32 s33, s7, s33
	s_andn2_b32 exec_lo, exec_lo, s33
	s_cbranch_execz .LBB24_161
.LBB24_170:                             ;   Parent Loop BB24_148 Depth=1
                                        ;     Parent Loop BB24_162 Depth=2
                                        ; =>    This Loop Header: Depth=3
                                        ;         Child Loop BB24_172 Depth 4
	s_and_saveexec_b32 s34, vcc_lo
	s_cbranch_execz .LBB24_169
; %bb.171:                              ;   in Loop: Header=BB24_170 Depth=3
	v_mul_lo_u32 v19, 0x110, v16
	v_mov_b32_e32 v17, v15
	v_mov_b32_e32 v18, v4
	;; [unrolled: 1-line block ×3, first 2 shown]
	s_mov_b32 s35, 0
	v_add3_u32 v19, 0x1100, s21, v19
	.p2align	6
.LBB24_172:                             ;   Parent Loop BB24_148 Depth=1
                                        ;     Parent Loop BB24_162 Depth=2
                                        ;       Parent Loop BB24_170 Depth=3
                                        ; =>      This Inner Loop Header: Depth=4
	ds_read_b128 v[21:24], v18
	ds_read_b128 v[25:28], v19 offset:16
	ds_read_b128 v[29:32], v17
	v_add_nc_u32_e32 v20, 4, v20
	v_add_nc_u32_e32 v18, 64, v18
	v_cmp_le_i32_e64 s7, s27, v20
	s_or_b32 s35, s7, s35
	s_waitcnt lgkmcnt(0)
	v_fma_f64 v[29:30], -v[21:22], v[25:26], v[29:30]
	v_fma_f64 v[25:26], -v[23:24], v[25:26], v[31:32]
	v_fma_f64 v[23:24], v[23:24], v[27:28], v[29:30]
	v_fma_f64 v[25:26], -v[21:22], v[27:28], v[25:26]
	ds_write_b128 v17, v[23:26]
	v_add_nc_u32_e32 v17, 64, v17
	s_andn2_b32 exec_lo, exec_lo, s35
	s_cbranch_execnz .LBB24_172
	s_branch .LBB24_169
.LBB24_173:                             ;   in Loop: Header=BB24_148 Depth=1
	s_andn2_b32 vcc_lo, exec_lo, s14
	s_mov_b32 s20, -1
	s_cbranch_vccnz .LBB24_183
; %bb.174:                              ;   in Loop: Header=BB24_148 Depth=1
	s_and_saveexec_b32 s19, s5
	s_xor_b32 s19, exec_lo, s19
	s_cbranch_execz .LBB24_176
; %bb.175:                              ;   in Loop: Header=BB24_148 Depth=1
	s_waitcnt lgkmcnt(0)
	buffer_gl0_inv
.LBB24_176:                             ;   in Loop: Header=BB24_148 Depth=1
	s_or_saveexec_b32 s19, s19
	s_mov_b32 s20, 0
	s_xor_b32 exec_lo, exec_lo, s19
	s_cbranch_execz .LBB24_185
; %bb.177:                              ;   in Loop: Header=BB24_148 Depth=1
	v_add_nc_u32_e32 v13, s7, v1
	v_mad_u64_u32 v[3:4], null, 0x120, s7, v[2:3]
	v_add_nc_u32_e32 v5, s7, v6
	s_lshl_b32 s21, s7, 4
	v_lshl_add_u32 v4, v13, 4, v12
	v_mov_b32_e32 v13, v0
	v_cmp_gt_i32_e32 vcc_lo, s27, v5
	s_inst_prefetch 0x1
	s_branch .LBB24_179
	.p2align	6
.LBB24_178:                             ;   in Loop: Header=BB24_179 Depth=2
	s_or_b32 exec_lo, exec_lo, s33
	v_add_nc_u32_e32 v13, 16, v13
	v_add_nc_u32_e32 v4, 0x1100, v4
	v_cmp_le_i32_e64 s7, s27, v13
	s_or_b32 s20, s7, s20
	s_andn2_b32 exec_lo, exec_lo, s20
	s_cbranch_execz .LBB24_184
.LBB24_179:                             ;   Parent Loop BB24_148 Depth=1
                                        ; =>  This Loop Header: Depth=2
                                        ;       Child Loop BB24_181 Depth 3
	s_and_saveexec_b32 s33, vcc_lo
	s_cbranch_execz .LBB24_178
; %bb.180:                              ;   in Loop: Header=BB24_179 Depth=2
	v_mul_lo_u32 v16, 0x110, v13
	v_mov_b32_e32 v14, v3
	v_mov_b32_e32 v15, v4
	;; [unrolled: 1-line block ×3, first 2 shown]
	s_mov_b32 s34, 0
	v_add3_u32 v16, 0x1100, s21, v16
	.p2align	6
.LBB24_181:                             ;   Parent Loop BB24_148 Depth=1
                                        ;     Parent Loop BB24_179 Depth=2
                                        ; =>    This Inner Loop Header: Depth=3
	ds_read_b128 v[18:21], v14
	ds_read_b128 v[22:25], v16
	;; [unrolled: 1-line block ×3, first 2 shown]
	v_add_nc_u32_e32 v17, 4, v17
	v_add_nc_u32_e32 v14, 64, v14
	v_cmp_le_i32_e64 s7, s27, v17
	s_or_b32 s34, s7, s34
	s_waitcnt lgkmcnt(0)
	v_fma_f64 v[26:27], -v[18:19], v[22:23], v[26:27]
	v_fma_f64 v[22:23], -v[20:21], v[22:23], v[28:29]
	v_fma_f64 v[20:21], v[20:21], v[24:25], v[26:27]
	v_fma_f64 v[22:23], -v[18:19], v[24:25], v[22:23]
	ds_write_b128 v15, v[20:23]
	v_add_nc_u32_e32 v15, 64, v15
	s_andn2_b32 exec_lo, exec_lo, s34
	s_cbranch_execnz .LBB24_181
	s_branch .LBB24_178
.LBB24_182:                             ;   in Loop: Header=BB24_148 Depth=1
	s_mov_b32 s20, -1
.LBB24_183:                             ;   in Loop: Header=BB24_148 Depth=1
	s_and_saveexec_b32 s7, s20
	s_xor_b32 s19, exec_lo, s7
	s_cbranch_execz .LBB24_147
	s_branch .LBB24_186
.LBB24_184:                             ;   in Loop: Header=BB24_148 Depth=1
	s_inst_prefetch 0x2
	s_or_b32 exec_lo, exec_lo, s20
	s_mov_b32 s20, exec_lo
.LBB24_185:                             ;   in Loop: Header=BB24_148 Depth=1
	s_or_b32 exec_lo, exec_lo, s19
	s_and_saveexec_b32 s7, s20
	s_xor_b32 s19, exec_lo, s7
	s_cbranch_execz .LBB24_147
.LBB24_186:                             ;   in Loop: Header=BB24_148 Depth=1
	s_waitcnt lgkmcnt(0)
	buffer_gl0_inv
	s_and_saveexec_b32 s20, s4
	s_cbranch_execz .LBB24_146
; %bb.187:                              ;   in Loop: Header=BB24_148 Depth=1
	v_mov_b32_e32 v13, v8
	v_mov_b32_e32 v14, v7
	;; [unrolled: 1-line block ×3, first 2 shown]
	s_mul_i32 s21, s9, s27
	s_mov_b32 s33, 0
	s_inst_prefetch 0x1
	s_branch .LBB24_189
	.p2align	6
.LBB24_188:                             ;   in Loop: Header=BB24_189 Depth=2
	s_or_b32 exec_lo, exec_lo, s34
	v_add_nc_u32_e32 v3, 16, v3
	v_add_nc_u32_e32 v14, s18, v14
	;; [unrolled: 1-line block ×3, first 2 shown]
	v_cmp_le_i32_e32 vcc_lo, s27, v3
	s_or_b32 s33, vcc_lo, s33
	s_andn2_b32 exec_lo, exec_lo, s33
	s_cbranch_execz .LBB24_146
.LBB24_189:                             ;   Parent Loop BB24_148 Depth=1
                                        ; =>  This Loop Header: Depth=2
                                        ;       Child Loop BB24_192 Depth 3
	s_and_saveexec_b32 s34, s6
	s_cbranch_execz .LBB24_188
; %bb.190:                              ;   in Loop: Header=BB24_189 Depth=2
	v_mov_b32_e32 v15, v13
	v_mov_b32_e32 v16, v1
	s_mov_b32 s35, 0
	s_branch .LBB24_192
	.p2align	6
.LBB24_191:                             ;   in Loop: Header=BB24_192 Depth=3
	ds_read2_b64 v[17:20], v15 offset1:1
	v_ashrrev_i32_e32 v5, 31, v4
	v_add_nc_u32_e32 v16, 4, v16
	v_add_nc_u32_e32 v15, 0x440, v15
	v_lshlrev_b64 v[4:5], 4, v[4:5]
	v_cmp_le_i32_e32 vcc_lo, s27, v16
	s_or_b32 s35, vcc_lo, s35
	v_add_co_u32 v4, s7, s16, v4
	v_add_co_ci_u32_e64 v5, null, s17, v5, s7
	s_waitcnt lgkmcnt(0)
	global_store_dwordx4 v[4:5], v[17:20], off
	s_andn2_b32 exec_lo, exec_lo, s35
	s_cbranch_execz .LBB24_188
.LBB24_192:                             ;   Parent Loop BB24_148 Depth=1
                                        ;     Parent Loop BB24_189 Depth=2
                                        ; =>    This Inner Loop Header: Depth=3
	s_and_b32 vcc_lo, exec_lo, s10
	s_cbranch_vccz .LBB24_194
; %bb.193:                              ;   in Loop: Header=BB24_192 Depth=3
	v_add_nc_u32_e32 v4, s21, v16
	v_mad_u64_u32 v[4:5], null, v4, s27, v[3:4]
	s_cbranch_execnz .LBB24_191
	s_branch .LBB24_195
	.p2align	6
.LBB24_194:                             ;   in Loop: Header=BB24_192 Depth=3
                                        ; implicit-def: $vgpr4
.LBB24_195:                             ;   in Loop: Header=BB24_192 Depth=3
	v_add_nc_u32_e32 v4, v14, v16
	s_branch .LBB24_191
.LBB24_196:
	v_or_b32_e32 v0, v0, v1
	s_mov_b32 s4, exec_lo
	v_cmpx_eq_u32_e32 0, v0
	s_cbranch_execz .LBB24_200
; %bb.197:
	v_mov_b32_e32 v0, 0
	v_mov_b32_e32 v1, 1
	s_add_u32 s4, s24, s30
	s_addc_u32 s5, s25, s31
	s_waitcnt lgkmcnt(0)
	s_waitcnt_vscnt null, 0x0
	global_store_dword v0, v1, s[4:5]
	s_and_b32 exec_lo, exec_lo, s8
	s_cbranch_execz .LBB24_200
; %bb.198:
	v_mbcnt_lo_u32_b32 v0, exec_lo, 0
	v_cmp_eq_u32_e32 vcc_lo, 0, v0
	s_and_b32 exec_lo, exec_lo, vcc_lo
	s_cbranch_execz .LBB24_200
; %bb.199:
	s_add_i32 s4, s26, s28
	v_mov_b32_e32 v0, 0
	v_mov_b32_e32 v1, s4
	global_atomic_smin v0, v1, s[22:23]
.LBB24_200:
	s_endpgm
	.section	.rodata,"a",@progbits
	.p2align	6, 0x0
	.amdhsa_kernel _ZN9rocsparseL12bsrilu0_9_32ILj64ELj64ELj16E21rocsparse_complex_numIdEEEv20rocsparse_direction_iPKiS5_PT2_S5_iPiS5_S8_21rocsparse_index_base_imNS_24const_host_device_scalarIfEENSA_IdEENSA_IS6_EEb
		.amdhsa_group_segment_fixed_size 8704
		.amdhsa_private_segment_fixed_size 48
		.amdhsa_kernarg_size 124
		.amdhsa_user_sgpr_count 8
		.amdhsa_user_sgpr_private_segment_buffer 1
		.amdhsa_user_sgpr_dispatch_ptr 0
		.amdhsa_user_sgpr_queue_ptr 0
		.amdhsa_user_sgpr_kernarg_segment_ptr 1
		.amdhsa_user_sgpr_dispatch_id 0
		.amdhsa_user_sgpr_flat_scratch_init 1
		.amdhsa_user_sgpr_private_segment_size 0
		.amdhsa_wavefront_size32 1
		.amdhsa_uses_dynamic_stack 0
		.amdhsa_system_sgpr_private_segment_wavefront_offset 1
		.amdhsa_system_sgpr_workgroup_id_x 1
		.amdhsa_system_sgpr_workgroup_id_y 0
		.amdhsa_system_sgpr_workgroup_id_z 0
		.amdhsa_system_sgpr_workgroup_info 0
		.amdhsa_system_vgpr_workitem_id 1
		.amdhsa_next_free_vgpr 113
		.amdhsa_next_free_sgpr 49
		.amdhsa_reserve_vcc 1
		.amdhsa_reserve_flat_scratch 1
		.amdhsa_float_round_mode_32 0
		.amdhsa_float_round_mode_16_64 0
		.amdhsa_float_denorm_mode_32 3
		.amdhsa_float_denorm_mode_16_64 3
		.amdhsa_dx10_clamp 1
		.amdhsa_ieee_mode 1
		.amdhsa_fp16_overflow 0
		.amdhsa_workgroup_processor_mode 1
		.amdhsa_memory_ordered 1
		.amdhsa_forward_progress 1
		.amdhsa_shared_vgpr_count 0
		.amdhsa_exception_fp_ieee_invalid_op 0
		.amdhsa_exception_fp_denorm_src 0
		.amdhsa_exception_fp_ieee_div_zero 0
		.amdhsa_exception_fp_ieee_overflow 0
		.amdhsa_exception_fp_ieee_underflow 0
		.amdhsa_exception_fp_ieee_inexact 0
		.amdhsa_exception_int_div_zero 0
	.end_amdhsa_kernel
	.section	.text._ZN9rocsparseL12bsrilu0_9_32ILj64ELj64ELj16E21rocsparse_complex_numIdEEEv20rocsparse_direction_iPKiS5_PT2_S5_iPiS5_S8_21rocsparse_index_base_imNS_24const_host_device_scalarIfEENSA_IdEENSA_IS6_EEb,"axG",@progbits,_ZN9rocsparseL12bsrilu0_9_32ILj64ELj64ELj16E21rocsparse_complex_numIdEEEv20rocsparse_direction_iPKiS5_PT2_S5_iPiS5_S8_21rocsparse_index_base_imNS_24const_host_device_scalarIfEENSA_IdEENSA_IS6_EEb,comdat
.Lfunc_end24:
	.size	_ZN9rocsparseL12bsrilu0_9_32ILj64ELj64ELj16E21rocsparse_complex_numIdEEEv20rocsparse_direction_iPKiS5_PT2_S5_iPiS5_S8_21rocsparse_index_base_imNS_24const_host_device_scalarIfEENSA_IdEENSA_IS6_EEb, .Lfunc_end24-_ZN9rocsparseL12bsrilu0_9_32ILj64ELj64ELj16E21rocsparse_complex_numIdEEEv20rocsparse_direction_iPKiS5_PT2_S5_iPiS5_S8_21rocsparse_index_base_imNS_24const_host_device_scalarIfEENSA_IdEENSA_IS6_EEb
                                        ; -- End function
	.set _ZN9rocsparseL12bsrilu0_9_32ILj64ELj64ELj16E21rocsparse_complex_numIdEEEv20rocsparse_direction_iPKiS5_PT2_S5_iPiS5_S8_21rocsparse_index_base_imNS_24const_host_device_scalarIfEENSA_IdEENSA_IS6_EEb.num_vgpr, 44
	.set _ZN9rocsparseL12bsrilu0_9_32ILj64ELj64ELj16E21rocsparse_complex_numIdEEEv20rocsparse_direction_iPKiS5_PT2_S5_iPiS5_S8_21rocsparse_index_base_imNS_24const_host_device_scalarIfEENSA_IdEENSA_IS6_EEb.num_agpr, 0
	.set _ZN9rocsparseL12bsrilu0_9_32ILj64ELj64ELj16E21rocsparse_complex_numIdEEEv20rocsparse_direction_iPKiS5_PT2_S5_iPiS5_S8_21rocsparse_index_base_imNS_24const_host_device_scalarIfEENSA_IdEENSA_IS6_EEb.numbered_sgpr, 49
	.set _ZN9rocsparseL12bsrilu0_9_32ILj64ELj64ELj16E21rocsparse_complex_numIdEEEv20rocsparse_direction_iPKiS5_PT2_S5_iPiS5_S8_21rocsparse_index_base_imNS_24const_host_device_scalarIfEENSA_IdEENSA_IS6_EEb.num_named_barrier, 0
	.set _ZN9rocsparseL12bsrilu0_9_32ILj64ELj64ELj16E21rocsparse_complex_numIdEEEv20rocsparse_direction_iPKiS5_PT2_S5_iPiS5_S8_21rocsparse_index_base_imNS_24const_host_device_scalarIfEENSA_IdEENSA_IS6_EEb.private_seg_size, 48
	.set _ZN9rocsparseL12bsrilu0_9_32ILj64ELj64ELj16E21rocsparse_complex_numIdEEEv20rocsparse_direction_iPKiS5_PT2_S5_iPiS5_S8_21rocsparse_index_base_imNS_24const_host_device_scalarIfEENSA_IdEENSA_IS6_EEb.uses_vcc, 1
	.set _ZN9rocsparseL12bsrilu0_9_32ILj64ELj64ELj16E21rocsparse_complex_numIdEEEv20rocsparse_direction_iPKiS5_PT2_S5_iPiS5_S8_21rocsparse_index_base_imNS_24const_host_device_scalarIfEENSA_IdEENSA_IS6_EEb.uses_flat_scratch, 1
	.set _ZN9rocsparseL12bsrilu0_9_32ILj64ELj64ELj16E21rocsparse_complex_numIdEEEv20rocsparse_direction_iPKiS5_PT2_S5_iPiS5_S8_21rocsparse_index_base_imNS_24const_host_device_scalarIfEENSA_IdEENSA_IS6_EEb.has_dyn_sized_stack, 0
	.set _ZN9rocsparseL12bsrilu0_9_32ILj64ELj64ELj16E21rocsparse_complex_numIdEEEv20rocsparse_direction_iPKiS5_PT2_S5_iPiS5_S8_21rocsparse_index_base_imNS_24const_host_device_scalarIfEENSA_IdEENSA_IS6_EEb.has_recursion, 0
	.set _ZN9rocsparseL12bsrilu0_9_32ILj64ELj64ELj16E21rocsparse_complex_numIdEEEv20rocsparse_direction_iPKiS5_PT2_S5_iPiS5_S8_21rocsparse_index_base_imNS_24const_host_device_scalarIfEENSA_IdEENSA_IS6_EEb.has_indirect_call, 0
	.section	.AMDGPU.csdata,"",@progbits
; Kernel info:
; codeLenInByte = 7660
; TotalNumSgprs: 51
; NumVgprs: 44
; ScratchSize: 48
; MemoryBound: 0
; FloatMode: 240
; IeeeMode: 1
; LDSByteSize: 8704 bytes/workgroup (compile time only)
; SGPRBlocks: 0
; VGPRBlocks: 14
; NumSGPRsForWavesPerEU: 51
; NumVGPRsForWavesPerEU: 113
; Occupancy: 8
; WaveLimiterHint : 1
; COMPUTE_PGM_RSRC2:SCRATCH_EN: 1
; COMPUTE_PGM_RSRC2:USER_SGPR: 8
; COMPUTE_PGM_RSRC2:TRAP_HANDLER: 0
; COMPUTE_PGM_RSRC2:TGID_X_EN: 1
; COMPUTE_PGM_RSRC2:TGID_Y_EN: 0
; COMPUTE_PGM_RSRC2:TGID_Z_EN: 0
; COMPUTE_PGM_RSRC2:TIDIG_COMP_CNT: 1
	.section	.text._ZN9rocsparseL12bsrilu0_9_32ILj64ELj64ELj32E21rocsparse_complex_numIdEEEv20rocsparse_direction_iPKiS5_PT2_S5_iPiS5_S8_21rocsparse_index_base_imNS_24const_host_device_scalarIfEENSA_IdEENSA_IS6_EEb,"axG",@progbits,_ZN9rocsparseL12bsrilu0_9_32ILj64ELj64ELj32E21rocsparse_complex_numIdEEEv20rocsparse_direction_iPKiS5_PT2_S5_iPiS5_S8_21rocsparse_index_base_imNS_24const_host_device_scalarIfEENSA_IdEENSA_IS6_EEb,comdat
	.globl	_ZN9rocsparseL12bsrilu0_9_32ILj64ELj64ELj32E21rocsparse_complex_numIdEEEv20rocsparse_direction_iPKiS5_PT2_S5_iPiS5_S8_21rocsparse_index_base_imNS_24const_host_device_scalarIfEENSA_IdEENSA_IS6_EEb ; -- Begin function _ZN9rocsparseL12bsrilu0_9_32ILj64ELj64ELj32E21rocsparse_complex_numIdEEEv20rocsparse_direction_iPKiS5_PT2_S5_iPiS5_S8_21rocsparse_index_base_imNS_24const_host_device_scalarIfEENSA_IdEENSA_IS6_EEb
	.p2align	8
	.type	_ZN9rocsparseL12bsrilu0_9_32ILj64ELj64ELj32E21rocsparse_complex_numIdEEEv20rocsparse_direction_iPKiS5_PT2_S5_iPiS5_S8_21rocsparse_index_base_imNS_24const_host_device_scalarIfEENSA_IdEENSA_IS6_EEb,@function
_ZN9rocsparseL12bsrilu0_9_32ILj64ELj64ELj32E21rocsparse_complex_numIdEEEv20rocsparse_direction_iPKiS5_PT2_S5_iPiS5_S8_21rocsparse_index_base_imNS_24const_host_device_scalarIfEENSA_IdEENSA_IS6_EEb: ; @_ZN9rocsparseL12bsrilu0_9_32ILj64ELj64ELj32E21rocsparse_complex_numIdEEEv20rocsparse_direction_iPKiS5_PT2_S5_iPiS5_S8_21rocsparse_index_base_imNS_24const_host_device_scalarIfEENSA_IdEENSA_IS6_EEb
; %bb.0:
	s_add_u32 s6, s6, s9
	s_addc_u32 s7, s7, 0
	s_setreg_b32 hwreg(HW_REG_FLAT_SCR_LO), s6
	s_setreg_b32 hwreg(HW_REG_FLAT_SCR_HI), s7
	s_add_u32 s0, s0, s9
	s_clause 0x3
	s_load_dword s9, s[4:5], 0x78
	s_load_dwordx2 s[28:29], s[4:5], 0x48
	s_load_dwordx8 s[20:27], s[4:5], 0x50
	s_load_dwordx2 s[6:7], s[4:5], 0x70
	s_addc_u32 s1, s1, 0
	s_waitcnt lgkmcnt(0)
	s_bitcmp1_b32 s9, 0
	s_cselect_b32 s9, -1, 0
	s_cmp_eq_u32 s29, 0
	v_mov_b32_e32 v2, s27
	s_cselect_b32 s14, -1, 0
	s_cmp_lg_u32 s29, 0
	v_mov_b32_e32 v3, s26
	s_cselect_b32 s12, -1, 0
	s_or_b32 s15, s14, s9
	buffer_store_dword v2, off, s[0:3], 0 offset:36
	s_xor_b32 s13, s15, -1
	s_and_b32 s10, s14, exec_lo
	s_cselect_b32 s11, 0, s25
	s_cselect_b32 s10, 0, s24
	s_and_b32 vcc_lo, exec_lo, s15
	buffer_store_dword v3, off, s[0:3], 0 offset:32
	s_cbranch_vccnz .LBB25_2
; %bb.1:
	s_load_dword s10, s[22:23], 0x0
	s_waitcnt lgkmcnt(0)
	v_mov_b32_e32 v18, s10
	s_mov_b64 s[10:11], s[24:25]
	v_mov_b32_e32 v10, s10
	v_mov_b32_e32 v11, s11
	s_andn2_b32 vcc_lo, exec_lo, s13
	s_cbranch_vccz .LBB25_3
	s_branch .LBB25_4
.LBB25_2:
	v_cndmask_b32_e64 v18, s22, 0, s14
	v_mov_b32_e32 v10, s10
	v_mov_b32_e32 v11, s11
	s_andn2_b32 vcc_lo, exec_lo, s13
	s_cbranch_vccnz .LBB25_4
.LBB25_3:
	v_mov_b32_e32 v2, s24
	v_mov_b32_e32 v3, s25
	flat_load_dwordx2 v[10:11], v[2:3]
.LBB25_4:
	v_mov_b32_e32 v2, 0
	v_mov_b32_e32 v4, 0
	v_cndmask_b32_e64 v17, 0, 1, s12
	v_mov_b32_e32 v3, 0
	v_mov_b32_e32 v5, 0
	s_andn2_b32 vcc_lo, exec_lo, s12
	s_cbranch_vccnz .LBB25_7
; %bb.5:
	s_mov_b64 s[10:11], src_private_base
	s_xor_b32 s10, s9, -1
	s_and_b32 s9, s9, exec_lo
	s_cselect_b32 s9, 32, s26
	s_cselect_b32 s11, s11, s27
	v_mov_b32_e32 v2, s9
	v_mov_b32_e32 v3, s11
	;; [unrolled: 1-line block ×4, first 2 shown]
	s_andn2_b32 vcc_lo, exec_lo, s10
	flat_load_dwordx2 v[2:3], v[2:3]
	s_cbranch_vccnz .LBB25_7
; %bb.6:
	v_mov_b32_e32 v4, s26
	v_mov_b32_e32 v5, s27
	flat_load_dwordx2 v[4:5], v[4:5] offset:8
.LBB25_7:
	s_clause 0x1
	s_load_dwordx4 s[24:27], s[4:5], 0x30
	s_load_dwordx2 s[22:23], s[4:5], 0x40
	s_mov_b32 s9, 0
	s_lshl_b64 s[6:7], s[8:9], 2
	s_waitcnt lgkmcnt(0)
	s_add_u32 s6, s26, s6
	s_addc_u32 s7, s27, s7
	s_load_dword s26, s[6:7], 0x0
	s_load_dwordx8 s[12:19], s[4:5], 0x8
	s_waitcnt lgkmcnt(0)
	s_ashr_i32 s27, s26, 31
	s_lshl_b64 s[30:31], s[26:27], 2
	s_add_u32 s6, s18, s30
	s_addc_u32 s7, s19, s31
	s_load_dword s34, s[6:7], 0x0
	s_waitcnt vmcnt(0)
	buffer_store_dword v3, off, s[0:3], 0 offset:4
	buffer_store_dword v2, off, s[0:3], 0
	buffer_store_dword v5, off, s[0:3], 0 offset:12
	buffer_store_dword v4, off, s[0:3], 0 offset:8
	s_waitcnt lgkmcnt(0)
	s_cmp_eq_u32 s34, -1
	s_cbranch_scc1 .LBB25_104
; %bb.8:
	s_add_u32 s6, s12, s30
	s_addc_u32 s7, s13, s31
	s_load_dwordx2 s[6:7], s[6:7], 0x0
	s_clause 0x1
	s_load_dwordx2 s[36:37], s[4:5], 0x0
	s_load_dword s27, s[4:5], 0x28
	s_waitcnt lgkmcnt(0)
	s_sub_i32 s38, s6, s28
	s_sub_i32 s29, s7, s28
	s_cmp_ge_i32 s38, s34
	s_cbranch_scc1 .LBB25_93
; %bb.9:
	v_lshlrev_b32_e32 v2, 5, v1
	v_lshlrev_b32_e32 v5, 4, v0
	s_cmp_lg_u32 s36, 0
	v_cmp_gt_i32_e64 s4, s27, v0
	v_cmp_le_i32_e64 s5, s27, v0
	v_add3_u32 v12, v2, v0, s38
	v_mad_u64_u32 v[2:3], null, s27, s38, v[0:1]
	v_mad_u32_u24 v20, 0x210, v1, v5
	v_cmp_gt_i32_e64 s6, s27, v1
	v_ashrrev_i32_e32 v13, 31, v12
	v_cmp_eq_u32_e64 s7, 0, v1
	v_add_nc_u32_e32 v19, 1, v1
	v_cmp_gt_i32_e64 s8, s29, v12
	v_mul_lo_u32 v21, s27, v2
	v_lshlrev_b64 v[3:4], 2, v[12:13]
	v_mul_u32_u24_e32 v22, 0x210, v1
	v_add_nc_u32_e32 v23, 0x4200, v20
	v_add_nc_u32_e32 v24, 0x4410, v20
	v_mad_u32_u24 v25, 0x210, v1, 0x210
	v_add_nc_u32_e32 v26, 0x4200, v5
	v_add_co_u32 v13, vcc_lo, s14, v3
	v_add_co_ci_u32_e64 v14, null, s15, v4, vcc_lo
	v_mov_b32_e32 v27, 0
	s_cselect_b32 s33, -1, 0
	s_cmp_gt_i32 s27, 0
	s_mul_i32 s42, s27, s27
	s_cselect_b32 s35, -1, 0
	s_add_i32 s37, s37, 1
	s_lshl_b32 s43, s27, 5
	s_branch .LBB25_12
.LBB25_10:                              ;   in Loop: Header=BB25_12 Depth=1
	s_mov_b32 s9, -1
.LBB25_11:                              ;   in Loop: Header=BB25_12 Depth=1
	s_add_i32 s38, s38, 1
	v_add_nc_u32_e32 v21, s42, v21
	s_cmp_lt_i32 s38, s34
	s_cselect_b32 s11, -1, 0
	s_and_b32 s10, s10, s11
	s_and_b32 vcc_lo, exec_lo, s10
	s_cbranch_vccz .LBB25_93
.LBB25_12:                              ; =>This Loop Header: Depth=1
                                        ;     Child Loop BB25_15 Depth 2
                                        ;       Child Loop BB25_18 Depth 3
                                        ;     Child Loop BB25_24 Depth 2
                                        ;     Child Loop BB25_28 Depth 2
                                        ;       Child Loop BB25_31 Depth 3
                                        ;     Child Loop BB25_38 Depth 2
                                        ;       Child Loop BB25_41 Depth 3
                                        ;         Child Loop BB25_45 Depth 4
                                        ;     Child Loop BB25_49 Depth 2
                                        ;       Child Loop BB25_52 Depth 3
                                        ;     Child Loop BB25_61 Depth 2
                                        ;       Child Loop BB25_66 Depth 3
                                        ;       Child Loop BB25_75 Depth 3
                                        ;         Child Loop BB25_78 Depth 4
                                        ;       Child Loop BB25_84 Depth 3
                                        ;         Child Loop BB25_87 Depth 4
                                        ;           Child Loop BB25_88 Depth 5
	s_ashr_i32 s39, s38, 31
	s_lshl_b64 s[10:11], s[38:39], 2
	s_add_u32 s10, s14, s10
	s_addc_u32 s11, s15, s11
	global_load_dword v2, v27, s[10:11]
	s_waitcnt vmcnt(0)
	v_readfirstlane_b32 s10, v2
	s_and_saveexec_b32 s11, s4
	s_cbranch_execz .LBB25_22
; %bb.13:                               ;   in Loop: Header=BB25_12 Depth=1
	v_mov_b32_e32 v5, v23
	v_mov_b32_e32 v6, v21
	;; [unrolled: 1-line block ×3, first 2 shown]
	s_mul_i32 s39, s38, s27
	s_mov_b32 s40, 0
	s_inst_prefetch 0x1
	s_branch .LBB25_15
	.p2align	6
.LBB25_14:                              ;   in Loop: Header=BB25_15 Depth=2
	s_or_b32 exec_lo, exec_lo, s41
	v_add_nc_u32_e32 v2, 32, v2
	v_add_nc_u32_e32 v6, s43, v6
	;; [unrolled: 1-line block ×3, first 2 shown]
	v_cmp_le_i32_e32 vcc_lo, s27, v2
	s_or_b32 s40, vcc_lo, s40
	s_andn2_b32 exec_lo, exec_lo, s40
	s_cbranch_execz .LBB25_22
.LBB25_15:                              ;   Parent Loop BB25_12 Depth=1
                                        ; =>  This Loop Header: Depth=2
                                        ;       Child Loop BB25_18 Depth 3
	s_and_saveexec_b32 s41, s6
	s_cbranch_execz .LBB25_14
; %bb.16:                               ;   in Loop: Header=BB25_15 Depth=2
	v_mov_b32_e32 v7, v5
	v_mov_b32_e32 v8, v1
	s_mov_b32 s44, 0
	s_branch .LBB25_18
	.p2align	6
.LBB25_17:                              ;   in Loop: Header=BB25_18 Depth=3
	v_ashrrev_i32_e32 v4, 31, v3
	v_add_nc_u32_e32 v8, 2, v8
	v_lshlrev_b64 v[3:4], 4, v[3:4]
	v_add_co_u32 v3, vcc_lo, s16, v3
	v_add_co_ci_u32_e64 v4, null, s17, v4, vcc_lo
	v_cmp_le_i32_e32 vcc_lo, s27, v8
	global_load_dwordx4 v[28:31], v[3:4], off
	s_or_b32 s44, vcc_lo, s44
	s_waitcnt vmcnt(0)
	ds_write2_b64 v7, v[28:29], v[30:31] offset1:1
	v_add_nc_u32_e32 v7, 0x420, v7
	s_andn2_b32 exec_lo, exec_lo, s44
	s_cbranch_execz .LBB25_14
.LBB25_18:                              ;   Parent Loop BB25_12 Depth=1
                                        ;     Parent Loop BB25_15 Depth=2
                                        ; =>    This Inner Loop Header: Depth=3
	s_and_b32 vcc_lo, exec_lo, s33
	s_cbranch_vccz .LBB25_20
; %bb.19:                               ;   in Loop: Header=BB25_18 Depth=3
	v_add_nc_u32_e32 v3, s39, v8
	v_mad_u64_u32 v[3:4], null, v3, s27, v[2:3]
	s_cbranch_execnz .LBB25_17
	s_branch .LBB25_21
	.p2align	6
.LBB25_20:                              ;   in Loop: Header=BB25_18 Depth=3
                                        ; implicit-def: $vgpr3
.LBB25_21:                              ;   in Loop: Header=BB25_18 Depth=3
	v_add_nc_u32_e32 v3, v6, v8
	s_branch .LBB25_17
.LBB25_22:                              ;   in Loop: Header=BB25_12 Depth=1
	s_inst_prefetch 0x2
	s_or_b32 exec_lo, exec_lo, s11
	s_sub_i32 s10, s10, s28
	s_ashr_i32 s11, s10, 31
	s_lshl_b64 s[40:41], s[10:11], 2
	s_add_u32 s10, s18, s40
	s_addc_u32 s11, s19, s41
	global_load_dword v2, v27, s[10:11]
	s_waitcnt vmcnt(0)
	v_cmp_eq_u32_e32 vcc_lo, -1, v2
	v_readfirstlane_b32 s39, v2
	v_cmp_ne_u32_e64 s10, -1, v2
	s_cbranch_vccnz .LBB25_10
; %bb.23:                               ;   in Loop: Header=BB25_12 Depth=1
	s_add_u32 s44, s12, s40
	s_addc_u32 s45, s13, s41
	s_add_u32 s40, s24, s40
	global_load_dword v2, v27, s[44:45] offset:4
	s_addc_u32 s41, s25, s41
	s_waitcnt vmcnt(0)
	v_readfirstlane_b32 s44, v2
.LBB25_24:                              ;   Parent Loop BB25_12 Depth=1
                                        ; =>  This Inner Loop Header: Depth=2
	global_load_dword v2, v27, s[40:41] glc dlc
	s_waitcnt vmcnt(0)
	v_cmp_eq_u32_e32 vcc_lo, 0, v2
	s_cbranch_vccnz .LBB25_24
; %bb.25:                               ;   in Loop: Header=BB25_12 Depth=1
	s_waitcnt lgkmcnt(0)
	s_waitcnt_vscnt null, 0x0
	buffer_gl1_inv
	buffer_gl0_inv
	s_and_saveexec_b32 s11, s4
	s_cbranch_execz .LBB25_35
; %bb.26:                               ;   in Loop: Header=BB25_12 Depth=1
	s_mul_i32 s40, s39, s27
	v_mov_b32_e32 v6, v20
	v_add_nc_u32_e32 v2, s40, v0
	s_mov_b32 s41, 0
	v_mul_lo_u32 v5, s27, v2
	v_mov_b32_e32 v2, v0
	s_inst_prefetch 0x1
	s_branch .LBB25_28
	.p2align	6
.LBB25_27:                              ;   in Loop: Header=BB25_28 Depth=2
	s_or_b32 exec_lo, exec_lo, s45
	v_add_nc_u32_e32 v2, 32, v2
	v_add_nc_u32_e32 v5, s43, v5
	;; [unrolled: 1-line block ×3, first 2 shown]
	v_cmp_le_i32_e32 vcc_lo, s27, v2
	s_or_b32 s41, vcc_lo, s41
	s_andn2_b32 exec_lo, exec_lo, s41
	s_cbranch_execz .LBB25_35
.LBB25_28:                              ;   Parent Loop BB25_12 Depth=1
                                        ; =>  This Loop Header: Depth=2
                                        ;       Child Loop BB25_31 Depth 3
	s_and_saveexec_b32 s45, s6
	s_cbranch_execz .LBB25_27
; %bb.29:                               ;   in Loop: Header=BB25_28 Depth=2
	v_mov_b32_e32 v7, v6
	v_mov_b32_e32 v8, v1
	s_mov_b32 s46, 0
	s_branch .LBB25_31
	.p2align	6
.LBB25_30:                              ;   in Loop: Header=BB25_31 Depth=3
	v_ashrrev_i32_e32 v4, 31, v3
	v_add_nc_u32_e32 v8, 2, v8
	v_lshlrev_b64 v[3:4], 4, v[3:4]
	v_add_co_u32 v3, vcc_lo, s16, v3
	v_add_co_ci_u32_e64 v4, null, s17, v4, vcc_lo
	v_cmp_le_i32_e32 vcc_lo, s27, v8
	global_load_dwordx4 v[28:31], v[3:4], off
	s_or_b32 s46, vcc_lo, s46
	s_waitcnt vmcnt(0)
	ds_write2_b64 v7, v[28:29], v[30:31] offset1:1
	v_add_nc_u32_e32 v7, 0x420, v7
	s_andn2_b32 exec_lo, exec_lo, s46
	s_cbranch_execz .LBB25_27
.LBB25_31:                              ;   Parent Loop BB25_12 Depth=1
                                        ;     Parent Loop BB25_28 Depth=2
                                        ; =>    This Inner Loop Header: Depth=3
	s_and_b32 vcc_lo, exec_lo, s33
	s_cbranch_vccz .LBB25_33
; %bb.32:                               ;   in Loop: Header=BB25_31 Depth=3
	v_add_nc_u32_e32 v3, s40, v8
	v_mad_u64_u32 v[3:4], null, v3, s27, v[2:3]
	s_cbranch_execnz .LBB25_30
	s_branch .LBB25_34
	.p2align	6
.LBB25_33:                              ;   in Loop: Header=BB25_31 Depth=3
                                        ; implicit-def: $vgpr3
.LBB25_34:                              ;   in Loop: Header=BB25_31 Depth=3
	v_add_nc_u32_e32 v3, v5, v8
	s_branch .LBB25_30
.LBB25_35:                              ;   in Loop: Header=BB25_12 Depth=1
	s_inst_prefetch 0x2
	s_or_b32 exec_lo, exec_lo, s11
	s_andn2_b32 vcc_lo, exec_lo, s35
	s_waitcnt lgkmcnt(0)
	buffer_gl0_inv
	s_cbranch_vccnz .LBB25_46
; %bb.36:                               ;   in Loop: Header=BB25_12 Depth=1
	v_mov_b32_e32 v28, v25
	v_mov_b32_e32 v29, v24
	s_mov_b32 s40, 0
	s_branch .LBB25_38
.LBB25_37:                              ;   in Loop: Header=BB25_38 Depth=2
	s_or_b32 exec_lo, exec_lo, s41
	v_add_nc_u32_e32 v29, 0x210, v29
	v_add_nc_u32_e32 v28, 0x220, v28
	s_add_i32 s40, s40, 1
	s_waitcnt lgkmcnt(0)
	buffer_gl0_inv
	s_cmp_eq_u32 s40, s27
	s_cbranch_scc1 .LBB25_46
.LBB25_38:                              ;   Parent Loop BB25_12 Depth=1
                                        ; =>  This Loop Header: Depth=2
                                        ;       Child Loop BB25_41 Depth 3
                                        ;         Child Loop BB25_45 Depth 4
	s_and_saveexec_b32 s41, s4
	s_cbranch_execz .LBB25_37
; %bb.39:                               ;   in Loop: Header=BB25_38 Depth=2
	s_mul_i32 s45, s40, 0x210
	s_lshl_b32 s11, s40, 4
	s_mov_b32 s46, 0
	s_add_i32 s11, s45, s11
	s_addk_i32 s45, 0x4200
	v_mov_b32_e32 v2, s11
	ds_read_b128 v[2:5], v2
	s_waitcnt lgkmcnt(0)
	v_mul_f64 v[6:7], v[4:5], v[4:5]
	v_fma_f64 v[6:7], v[2:3], v[2:3], v[6:7]
	v_div_scale_f64 v[8:9], null, v[6:7], v[6:7], 1.0
	v_rcp_f64_e32 v[15:16], v[8:9]
	v_fma_f64 v[30:31], -v[8:9], v[15:16], 1.0
	v_fma_f64 v[15:16], v[15:16], v[30:31], v[15:16]
	v_fma_f64 v[30:31], -v[8:9], v[15:16], 1.0
	v_fma_f64 v[15:16], v[15:16], v[30:31], v[15:16]
	v_div_scale_f64 v[30:31], vcc_lo, 1.0, v[6:7], 1.0
	v_mul_f64 v[32:33], v[30:31], v[15:16]
	v_fma_f64 v[8:9], -v[8:9], v[32:33], v[30:31]
	v_add_nc_u32_e32 v30, s40, v19
	v_mov_b32_e32 v31, v29
	v_div_fmas_f64 v[8:9], v[8:9], v[15:16], v[32:33]
	v_mov_b32_e32 v32, v0
	v_cmp_gt_i32_e32 vcc_lo, s27, v30
	v_div_fixup_f64 v[15:16], v[8:9], v[6:7], 1.0
	s_branch .LBB25_41
.LBB25_40:                              ;   in Loop: Header=BB25_41 Depth=3
	s_or_b32 exec_lo, exec_lo, s47
	v_add_nc_u32_e32 v32, 32, v32
	v_add_nc_u32_e32 v31, 0x200, v31
	v_cmp_le_i32_e64 s11, s27, v32
	s_or_b32 s46, s11, s46
	s_andn2_b32 exec_lo, exec_lo, s46
	s_cbranch_execz .LBB25_37
.LBB25_41:                              ;   Parent Loop BB25_12 Depth=1
                                        ;     Parent Loop BB25_38 Depth=2
                                        ; =>    This Loop Header: Depth=3
                                        ;         Child Loop BB25_45 Depth 4
	v_lshl_add_u32 v33, v32, 4, s45
	ds_read_b128 v[6:9], v33
	s_waitcnt lgkmcnt(0)
	buffer_gl0_inv
	v_mul_f64 v[34:35], v[4:5], v[8:9]
	v_mul_f64 v[36:37], v[4:5], -v[6:7]
	v_fma_f64 v[6:7], v[6:7], v[2:3], v[34:35]
	v_fma_f64 v[8:9], v[8:9], v[2:3], v[36:37]
	v_mul_f64 v[6:7], v[15:16], v[6:7]
	v_mul_f64 v[8:9], v[15:16], v[8:9]
	s_and_saveexec_b32 s11, s7
; %bb.42:                               ;   in Loop: Header=BB25_41 Depth=3
	ds_write_b128 v33, v[6:9]
; %bb.43:                               ;   in Loop: Header=BB25_41 Depth=3
	s_or_b32 exec_lo, exec_lo, s11
	s_and_saveexec_b32 s47, vcc_lo
	s_cbranch_execz .LBB25_40
; %bb.44:                               ;   in Loop: Header=BB25_41 Depth=3
	v_mov_b32_e32 v33, v28
	v_mov_b32_e32 v34, v31
	;; [unrolled: 1-line block ×3, first 2 shown]
	s_mov_b32 s48, 0
	.p2align	6
.LBB25_45:                              ;   Parent Loop BB25_12 Depth=1
                                        ;     Parent Loop BB25_38 Depth=2
                                        ;       Parent Loop BB25_41 Depth=3
                                        ; =>      This Inner Loop Header: Depth=4
	ds_read_b128 v[36:39], v33
	ds_read_b128 v[40:43], v34
	v_add_nc_u32_e32 v35, 2, v35
	v_add_nc_u32_e32 v33, 0x420, v33
	v_cmp_le_i32_e64 s11, s27, v35
	s_or_b32 s48, s11, s48
	s_waitcnt lgkmcnt(0)
	v_fma_f64 v[40:41], -v[6:7], v[36:37], v[40:41]
	v_fma_f64 v[42:43], -v[8:9], v[36:37], v[42:43]
	v_fma_f64 v[36:37], v[8:9], v[38:39], v[40:41]
	v_fma_f64 v[38:39], -v[6:7], v[38:39], v[42:43]
	ds_write_b128 v34, v[36:39]
	v_add_nc_u32_e32 v34, 0x420, v34
	s_andn2_b32 exec_lo, exec_lo, s48
	s_cbranch_execnz .LBB25_45
	s_branch .LBB25_40
.LBB25_46:                              ;   in Loop: Header=BB25_12 Depth=1
	s_and_saveexec_b32 s40, s4
	s_cbranch_execz .LBB25_56
; %bb.47:                               ;   in Loop: Header=BB25_12 Depth=1
	v_mov_b32_e32 v5, v23
	v_mov_b32_e32 v6, v21
	v_mov_b32_e32 v2, v0
	s_mul_i32 s41, s38, s27
	s_mov_b32 s45, 0
	s_inst_prefetch 0x1
	s_branch .LBB25_49
	.p2align	6
.LBB25_48:                              ;   in Loop: Header=BB25_49 Depth=2
	s_or_b32 exec_lo, exec_lo, s46
	v_add_nc_u32_e32 v2, 32, v2
	v_add_nc_u32_e32 v6, s43, v6
	;; [unrolled: 1-line block ×3, first 2 shown]
	v_cmp_le_i32_e32 vcc_lo, s27, v2
	s_or_b32 s45, vcc_lo, s45
	s_andn2_b32 exec_lo, exec_lo, s45
	s_cbranch_execz .LBB25_56
.LBB25_49:                              ;   Parent Loop BB25_12 Depth=1
                                        ; =>  This Loop Header: Depth=2
                                        ;       Child Loop BB25_52 Depth 3
	s_and_saveexec_b32 s46, s6
	s_cbranch_execz .LBB25_48
; %bb.50:                               ;   in Loop: Header=BB25_49 Depth=2
	v_mov_b32_e32 v7, v5
	v_mov_b32_e32 v8, v1
	s_mov_b32 s47, 0
	s_branch .LBB25_52
	.p2align	6
.LBB25_51:                              ;   in Loop: Header=BB25_52 Depth=3
	ds_read2_b64 v[28:31], v7 offset1:1
	v_ashrrev_i32_e32 v4, 31, v3
	v_add_nc_u32_e32 v8, 2, v8
	v_add_nc_u32_e32 v7, 0x420, v7
	v_lshlrev_b64 v[3:4], 4, v[3:4]
	v_cmp_le_i32_e32 vcc_lo, s27, v8
	s_or_b32 s47, vcc_lo, s47
	v_add_co_u32 v3, s11, s16, v3
	v_add_co_ci_u32_e64 v4, null, s17, v4, s11
	s_waitcnt lgkmcnt(0)
	global_store_dwordx4 v[3:4], v[28:31], off
	s_andn2_b32 exec_lo, exec_lo, s47
	s_cbranch_execz .LBB25_48
.LBB25_52:                              ;   Parent Loop BB25_12 Depth=1
                                        ;     Parent Loop BB25_49 Depth=2
                                        ; =>    This Inner Loop Header: Depth=3
	s_and_b32 vcc_lo, exec_lo, s33
	s_cbranch_vccz .LBB25_54
; %bb.53:                               ;   in Loop: Header=BB25_52 Depth=3
	v_add_nc_u32_e32 v3, s41, v8
	v_mad_u64_u32 v[3:4], null, v3, s27, v[2:3]
	s_cbranch_execnz .LBB25_51
	s_branch .LBB25_55
	.p2align	6
.LBB25_54:                              ;   in Loop: Header=BB25_52 Depth=3
                                        ; implicit-def: $vgpr3
.LBB25_55:                              ;   in Loop: Header=BB25_52 Depth=3
	v_add_nc_u32_e32 v3, v6, v8
	s_branch .LBB25_51
.LBB25_56:                              ;   in Loop: Header=BB25_12 Depth=1
	s_inst_prefetch 0x2
	s_or_b32 exec_lo, exec_lo, s40
	s_sub_i32 s11, s44, s28
	s_add_i32 s40, s39, 1
	s_cmp_ge_i32 s40, s11
	s_cbranch_scc1 .LBB25_11
; %bb.57:                               ;   in Loop: Header=BB25_12 Depth=1
	v_mad_u64_u32 v[2:3], null, s27, s40, v[0:1]
	v_mul_lo_u32 v9, s27, v2
	s_branch .LBB25_61
.LBB25_58:                              ;   in Loop: Header=BB25_61 Depth=2
	s_or_b32 exec_lo, exec_lo, s41
.LBB25_59:                              ;   in Loop: Header=BB25_61 Depth=2
	s_or_b32 exec_lo, exec_lo, s39
.LBB25_60:                              ;   in Loop: Header=BB25_61 Depth=2
	v_add_nc_u32_e32 v9, s42, v9
	s_add_i32 s40, s40, 1
	s_waitcnt lgkmcnt(0)
	s_waitcnt_vscnt null, 0x0
	buffer_gl0_inv
	s_cmp_lt_i32 s40, s11
	s_cbranch_scc0 .LBB25_11
.LBB25_61:                              ;   Parent Loop BB25_12 Depth=1
                                        ; =>  This Loop Header: Depth=2
                                        ;       Child Loop BB25_66 Depth 3
                                        ;       Child Loop BB25_75 Depth 3
                                        ;         Child Loop BB25_78 Depth 4
                                        ;       Child Loop BB25_84 Depth 3
                                        ;         Child Loop BB25_87 Depth 4
                                        ;           Child Loop BB25_88 Depth 5
	s_ashr_i32 s41, s40, 31
	v_mov_b32_e32 v3, s37
	s_lshl_b64 s[44:45], s[40:41], 2
	s_add_u32 s44, s14, s44
	s_addc_u32 s45, s15, s45
	global_load_dword v2, v27, s[44:45]
	s_and_saveexec_b32 s39, s8
	s_cbranch_execz .LBB25_63
; %bb.62:                               ;   in Loop: Header=BB25_61 Depth=2
	global_load_dword v3, v[13:14], off
	s_waitcnt vmcnt(0)
	v_subrev_nc_u32_e32 v3, s28, v3
.LBB25_63:                              ;   in Loop: Header=BB25_61 Depth=2
	s_or_b32 exec_lo, exec_lo, s39
	s_waitcnt vmcnt(0)
	v_subrev_nc_u32_e32 v4, s28, v2
	v_mov_b32_e32 v5, v12
	s_mov_b32 s39, exec_lo
	v_cmpx_lt_i32_e64 v3, v4
	s_cbranch_execz .LBB25_69
; %bb.64:                               ;   in Loop: Header=BB25_61 Depth=2
	v_mov_b32_e32 v2, v12
	s_mov_b32 s41, 0
	s_branch .LBB25_66
	.p2align	6
.LBB25_65:                              ;   in Loop: Header=BB25_66 Depth=3
	s_or_b32 exec_lo, exec_lo, s44
	v_cmp_ge_i32_e32 vcc_lo, v3, v4
	v_mov_b32_e32 v2, v5
	s_or_b32 s41, vcc_lo, s41
	s_andn2_b32 exec_lo, exec_lo, s41
	s_cbranch_execz .LBB25_68
.LBB25_66:                              ;   Parent Loop BB25_12 Depth=1
                                        ;     Parent Loop BB25_61 Depth=2
                                        ; =>    This Inner Loop Header: Depth=3
	v_add_nc_u32_e32 v5, 64, v2
	v_mov_b32_e32 v3, s37
	s_mov_b32 s44, exec_lo
	v_cmpx_gt_i32_e64 s29, v5
	s_cbranch_execz .LBB25_65
; %bb.67:                               ;   in Loop: Header=BB25_66 Depth=3
	v_ashrrev_i32_e32 v3, 31, v2
	v_lshlrev_b64 v[2:3], 2, v[2:3]
	v_add_co_u32 v2, vcc_lo, s14, v2
	v_add_co_ci_u32_e64 v3, null, s15, v3, vcc_lo
	global_load_dword v2, v[2:3], off offset:256
	s_waitcnt vmcnt(0)
	v_subrev_nc_u32_e32 v3, s28, v2
	s_branch .LBB25_65
.LBB25_68:                              ;   in Loop: Header=BB25_61 Depth=2
	s_or_b32 exec_lo, exec_lo, s41
.LBB25_69:                              ;   in Loop: Header=BB25_61 Depth=2
	s_or_b32 exec_lo, exec_lo, s39
	v_cmp_eq_u32_e32 vcc_lo, v3, v4
	s_cbranch_vccz .LBB25_60
; %bb.70:                               ;   in Loop: Header=BB25_61 Depth=2
	s_ff1_i32_b32 s39, vcc_lo
	s_lshl_b32 s39, s39, 2
	v_mov_b32_e32 v2, s39
	ds_bpermute_b32 v5, v2, v5
	s_and_saveexec_b32 s39, s5
	s_xor_b32 s39, exec_lo, s39
	s_cbranch_execz .LBB25_72
; %bb.71:                               ;   in Loop: Header=BB25_61 Depth=2
	s_waitcnt lgkmcnt(0)
	s_waitcnt_vscnt null, 0x0
	buffer_gl0_inv
                                        ; implicit-def: $vgpr5
.LBB25_72:                              ;   in Loop: Header=BB25_61 Depth=2
	s_andn2_saveexec_b32 s39, s39
	s_cbranch_execz .LBB25_59
; %bb.73:                               ;   in Loop: Header=BB25_61 Depth=2
	v_mov_b32_e32 v6, v20
	v_mov_b32_e32 v7, v9
	;; [unrolled: 1-line block ×3, first 2 shown]
	s_mul_i32 s44, s40, s27
	s_mov_b32 s41, 0
	s_inst_prefetch 0x1
	s_branch .LBB25_75
	.p2align	6
.LBB25_74:                              ;   in Loop: Header=BB25_75 Depth=3
	s_or_b32 exec_lo, exec_lo, s45
	v_add_nc_u32_e32 v2, 32, v2
	v_add_nc_u32_e32 v7, s43, v7
	v_add_nc_u32_e32 v6, 0x200, v6
	v_cmp_le_i32_e32 vcc_lo, s27, v2
	s_or_b32 s41, vcc_lo, s41
	s_andn2_b32 exec_lo, exec_lo, s41
	s_cbranch_execz .LBB25_82
.LBB25_75:                              ;   Parent Loop BB25_12 Depth=1
                                        ;     Parent Loop BB25_61 Depth=2
                                        ; =>    This Loop Header: Depth=3
                                        ;         Child Loop BB25_78 Depth 4
	s_and_saveexec_b32 s45, s6
	s_cbranch_execz .LBB25_74
; %bb.76:                               ;   in Loop: Header=BB25_75 Depth=3
	v_mov_b32_e32 v8, v6
	v_mov_b32_e32 v15, v1
	s_mov_b32 s46, 0
	s_branch .LBB25_78
	.p2align	6
.LBB25_77:                              ;   in Loop: Header=BB25_78 Depth=4
	v_ashrrev_i32_e32 v4, 31, v3
	v_add_nc_u32_e32 v15, 2, v15
	v_lshlrev_b64 v[3:4], 4, v[3:4]
	v_add_co_u32 v3, vcc_lo, s16, v3
	v_add_co_ci_u32_e64 v4, null, s17, v4, vcc_lo
	v_cmp_le_i32_e32 vcc_lo, s27, v15
	global_load_dwordx4 v[28:31], v[3:4], off
	s_or_b32 s46, vcc_lo, s46
	s_waitcnt vmcnt(0)
	ds_write2_b64 v8, v[28:29], v[30:31] offset1:1
	v_add_nc_u32_e32 v8, 0x420, v8
	s_andn2_b32 exec_lo, exec_lo, s46
	s_cbranch_execz .LBB25_74
.LBB25_78:                              ;   Parent Loop BB25_12 Depth=1
                                        ;     Parent Loop BB25_61 Depth=2
                                        ;       Parent Loop BB25_75 Depth=3
                                        ; =>      This Inner Loop Header: Depth=4
	s_and_b32 vcc_lo, exec_lo, s33
	s_cbranch_vccz .LBB25_80
; %bb.79:                               ;   in Loop: Header=BB25_78 Depth=4
	v_add_nc_u32_e32 v3, s44, v15
	v_mad_u64_u32 v[3:4], null, v3, s27, v[2:3]
	s_cbranch_execnz .LBB25_77
	s_branch .LBB25_81
	.p2align	6
.LBB25_80:                              ;   in Loop: Header=BB25_78 Depth=4
                                        ; implicit-def: $vgpr3
.LBB25_81:                              ;   in Loop: Header=BB25_78 Depth=4
	v_add_nc_u32_e32 v3, v7, v15
	s_branch .LBB25_77
.LBB25_82:                              ;   in Loop: Header=BB25_61 Depth=2
	s_inst_prefetch 0x2
	s_or_b32 exec_lo, exec_lo, s41
	s_waitcnt lgkmcnt(0)
	v_mul_lo_u32 v15, v5, s27
	v_mov_b32_e32 v16, v26
	v_mov_b32_e32 v2, v0
	s_mov_b32 s41, 0
	s_waitcnt_vscnt null, 0x0
	buffer_gl0_inv
	s_branch .LBB25_84
.LBB25_83:                              ;   in Loop: Header=BB25_84 Depth=3
	s_or_b32 exec_lo, exec_lo, s44
	v_add_nc_u32_e32 v2, 32, v2
	v_add_nc_u32_e32 v16, 0x200, v16
	v_cmp_le_i32_e32 vcc_lo, s27, v2
	s_or_b32 s41, vcc_lo, s41
	s_andn2_b32 exec_lo, exec_lo, s41
	s_cbranch_execz .LBB25_58
.LBB25_84:                              ;   Parent Loop BB25_12 Depth=1
                                        ;     Parent Loop BB25_61 Depth=2
                                        ; =>    This Loop Header: Depth=3
                                        ;         Child Loop BB25_87 Depth 4
                                        ;           Child Loop BB25_88 Depth 5
	s_and_saveexec_b32 s44, s6
	s_cbranch_execz .LBB25_83
; %bb.85:                               ;   in Loop: Header=BB25_84 Depth=3
	v_add_nc_u32_e32 v3, v2, v15
	v_mov_b32_e32 v29, v22
	v_mov_b32_e32 v30, v1
	s_mov_b32 s45, 0
	v_mul_lo_u32 v28, v3, s27
	s_branch .LBB25_87
.LBB25_86:                              ;   in Loop: Header=BB25_87 Depth=4
	v_ashrrev_i32_e32 v8, 31, v7
	v_add_nc_u32_e32 v30, 2, v30
	v_add_nc_u32_e32 v29, 0x420, v29
	v_lshlrev_b64 v[7:8], 4, v[7:8]
	v_add_co_u32 v7, vcc_lo, s16, v7
	v_add_co_ci_u32_e64 v8, null, s17, v8, vcc_lo
	v_cmp_le_i32_e32 vcc_lo, s27, v30
	global_load_dwordx4 v[31:34], v[7:8], off
	s_or_b32 s45, vcc_lo, s45
	s_waitcnt vmcnt(0)
	v_add_f64 v[3:4], v[31:32], -v[3:4]
	v_add_f64 v[5:6], v[33:34], -v[5:6]
	global_store_dwordx4 v[7:8], v[3:6], off
	s_andn2_b32 exec_lo, exec_lo, s45
	s_cbranch_execz .LBB25_83
.LBB25_87:                              ;   Parent Loop BB25_12 Depth=1
                                        ;     Parent Loop BB25_61 Depth=2
                                        ;       Parent Loop BB25_84 Depth=3
                                        ; =>      This Loop Header: Depth=4
                                        ;           Child Loop BB25_88 Depth 5
	v_mov_b32_e32 v3, 0
	v_mov_b32_e32 v5, 0
	;; [unrolled: 1-line block ×6, first 2 shown]
	s_mov_b32 s46, s27
	.p2align	6
.LBB25_88:                              ;   Parent Loop BB25_12 Depth=1
                                        ;     Parent Loop BB25_61 Depth=2
                                        ;       Parent Loop BB25_84 Depth=3
                                        ;         Parent Loop BB25_87 Depth=4
                                        ; =>        This Inner Loop Header: Depth=5
	ds_read_b128 v[31:34], v7
	ds_read_b128 v[35:38], v8
	v_add_nc_u32_e32 v8, 16, v8
	v_add_nc_u32_e32 v7, 0x210, v7
	s_add_i32 s46, s46, -1
	s_cmp_eq_u32 s46, 0
	s_waitcnt lgkmcnt(0)
	v_fma_f64 v[3:4], v[31:32], v[35:36], v[3:4]
	v_fma_f64 v[5:6], v[33:34], v[35:36], v[5:6]
	v_fma_f64 v[3:4], -v[33:34], v[37:38], v[3:4]
	v_fma_f64 v[5:6], v[31:32], v[37:38], v[5:6]
	s_cbranch_scc0 .LBB25_88
; %bb.89:                               ;   in Loop: Header=BB25_87 Depth=4
	s_and_b32 vcc_lo, exec_lo, s33
	s_cbranch_vccz .LBB25_91
; %bb.90:                               ;   in Loop: Header=BB25_87 Depth=4
	v_add_nc_u32_e32 v7, v30, v15
	v_mad_u64_u32 v[7:8], null, v7, s27, v[2:3]
	s_cbranch_execnz .LBB25_86
	s_branch .LBB25_92
.LBB25_91:                              ;   in Loop: Header=BB25_87 Depth=4
                                        ; implicit-def: $vgpr7
.LBB25_92:                              ;   in Loop: Header=BB25_87 Depth=4
	v_add_nc_u32_e32 v7, v30, v28
	s_branch .LBB25_86
.LBB25_93:
	s_ashr_i32 s35, s34, 31
	v_mov_b32_e32 v2, 0
	s_lshl_b64 s[4:5], s[34:35], 2
	s_add_u32 s4, s14, s4
	s_addc_u32 s5, s15, s5
	global_load_dword v2, v2, s[4:5]
	s_waitcnt vmcnt(0)
	v_subrev_nc_u32_e32 v2, s28, v2
	v_cmp_ne_u32_e32 vcc_lo, s26, v2
	s_cbranch_vccnz .LBB25_105
; %bb.94:
	v_cmp_gt_i32_e64 s4, s27, v0
	s_and_saveexec_b32 s6, s4
	s_cbranch_execz .LBB25_106
; %bb.95:
	s_mul_i32 s7, s34, s27
	v_lshlrev_b32_e32 v3, 4, v0
	v_add_nc_u32_e32 v2, s7, v0
	v_cmp_gt_u32_e64 s5, s27, v1
	s_cmp_lg_u32 s36, 0
	s_mov_b32 s8, 0
	v_mad_u32_u24 v6, 0x210, v1, v3
	v_mul_lo_u32 v5, s27, v2
	v_mov_b32_e32 v2, v0
	s_cselect_b32 s10, -1, 0
	s_lshl_b32 s11, s27, 5
	s_inst_prefetch 0x1
	s_branch .LBB25_97
	.p2align	6
.LBB25_96:                              ;   in Loop: Header=BB25_97 Depth=1
	s_or_b32 exec_lo, exec_lo, s12
	v_add_nc_u32_e32 v2, 32, v2
	v_add_nc_u32_e32 v5, s11, v5
	v_add_nc_u32_e32 v6, 0x200, v6
	v_cmp_le_i32_e32 vcc_lo, s27, v2
	s_or_b32 s8, vcc_lo, s8
	s_andn2_b32 exec_lo, exec_lo, s8
	s_cbranch_execz .LBB25_106
.LBB25_97:                              ; =>This Loop Header: Depth=1
                                        ;     Child Loop BB25_100 Depth 2
	s_and_saveexec_b32 s12, s5
	s_cbranch_execz .LBB25_96
; %bb.98:                               ;   in Loop: Header=BB25_97 Depth=1
	v_mov_b32_e32 v7, v6
	v_mov_b32_e32 v8, v1
	s_mov_b32 s13, 0
	s_branch .LBB25_100
	.p2align	6
.LBB25_99:                              ;   in Loop: Header=BB25_100 Depth=2
	v_ashrrev_i32_e32 v4, 31, v3
	v_add_nc_u32_e32 v8, 2, v8
	v_lshlrev_b64 v[3:4], 4, v[3:4]
	v_add_co_u32 v3, vcc_lo, s16, v3
	v_add_co_ci_u32_e64 v4, null, s17, v4, vcc_lo
	v_cmp_le_i32_e32 vcc_lo, s27, v8
	global_load_dwordx4 v[12:15], v[3:4], off
	s_or_b32 s13, vcc_lo, s13
	s_waitcnt vmcnt(0)
	ds_write2_b64 v7, v[12:13], v[14:15] offset1:1
	v_add_nc_u32_e32 v7, 0x420, v7
	s_andn2_b32 exec_lo, exec_lo, s13
	s_cbranch_execz .LBB25_96
.LBB25_100:                             ;   Parent Loop BB25_97 Depth=1
                                        ; =>  This Inner Loop Header: Depth=2
	s_and_b32 vcc_lo, exec_lo, s10
	s_cbranch_vccz .LBB25_102
; %bb.101:                              ;   in Loop: Header=BB25_100 Depth=2
	v_add_nc_u32_e32 v3, s7, v8
	v_mad_u64_u32 v[3:4], null, v3, s27, v[2:3]
	s_cbranch_execnz .LBB25_99
	s_branch .LBB25_103
	.p2align	6
.LBB25_102:                             ;   in Loop: Header=BB25_100 Depth=2
                                        ; implicit-def: $vgpr3
.LBB25_103:                             ;   in Loop: Header=BB25_100 Depth=2
	v_add_nc_u32_e32 v3, v5, v8
	s_branch .LBB25_99
.LBB25_104:
	s_mov_b32 s8, -1
	s_branch .LBB25_196
.LBB25_105:
	s_mov_b32 s8, s9
	s_add_i32 s9, s34, 1
	s_cmp_ge_i32 s9, s29
	s_cbranch_scc0 .LBB25_145
	s_branch .LBB25_196
.LBB25_106:
	s_inst_prefetch 0x2
	s_or_b32 exec_lo, exec_lo, s6
	s_cmp_lt_i32 s27, 1
	s_waitcnt lgkmcnt(0)
	s_waitcnt_vscnt null, 0x0
	buffer_gl0_inv
	s_cbranch_scc1 .LBB25_134
; %bb.107:
	v_cvt_f64_f32_e32 v[2:3], v18
	v_or_b32_e32 v4, v0, v1
	v_mul_u32_u24_e32 v5, 0x210, v1
	v_lshlrev_b32_e32 v6, 4, v0
	s_cmp_eq_u64 s[20:21], 8
	v_cmp_eq_u32_e64 s5, 0, v1
	s_cselect_b32 vcc_lo, -1, 0
	v_mad_u32_u24 v14, 0x210, v1, 0x210
	v_mov_b32_e32 v18, 0
	v_cmp_eq_u32_e64 s6, 0, v4
	v_add3_u32 v15, v5, v6, 0x220
	v_mov_b32_e32 v16, 0
	s_mov_b32 s10, 0
                                        ; implicit-def: $sgpr8
	v_cndmask_b32_e32 v7, v3, v11, vcc_lo
	v_cndmask_b32_e32 v6, v2, v10, vcc_lo
	s_branch .LBB25_109
.LBB25_108:                             ;   in Loop: Header=BB25_109 Depth=1
	s_or_b32 exec_lo, exec_lo, s7
	v_cmp_eq_u32_e32 vcc_lo, s27, v8
	v_add_nc_u32_e32 v15, 0x220, v15
	v_add_nc_u32_e32 v14, 0x220, v14
	v_mov_b32_e32 v18, v8
	s_or_b32 s10, vcc_lo, s10
	s_andn2_b32 s7, s8, exec_lo
	s_and_b32 s8, s9, exec_lo
	s_or_b32 s8, s7, s8
	s_andn2_b32 exec_lo, exec_lo, s10
	s_cbranch_execz .LBB25_133
.LBB25_109:                             ; =>This Loop Header: Depth=1
                                        ;     Child Loop BB25_126 Depth 2
                                        ;       Child Loop BB25_130 Depth 3
	v_mul_lo_u32 v19, 0x210, v18
	v_cmp_ne_u32_e32 vcc_lo, 1, v17
	s_mov_b32 s7, -1
	s_mov_b32 s12, 0
	s_and_b32 vcc_lo, exec_lo, vcc_lo
	v_lshl_add_u32 v20, v18, 4, v19
	ds_read2_b64 v[2:5], v20 offset1:1
	s_waitcnt lgkmcnt(0)
	buffer_store_dword v5, off, s[0:3], 0 offset:28
	buffer_store_dword v4, off, s[0:3], 0 offset:24
	;; [unrolled: 1-line block ×4, first 2 shown]
	s_cbranch_vccz .LBB25_113
; %bb.110:                              ;   in Loop: Header=BB25_109 Depth=1
	s_and_b32 vcc_lo, exec_lo, s7
	s_mov_b32 s11, 0
	s_cbranch_vccnz .LBB25_122
.LBB25_111:                             ;   in Loop: Header=BB25_109 Depth=1
                                        ; implicit-def: $vgpr8
	s_and_saveexec_b32 s7, s12
	s_xor_b32 s12, exec_lo, s7
	s_cbranch_execnz .LBB25_123
.LBB25_112:                             ;   in Loop: Header=BB25_109 Depth=1
	s_or_b32 exec_lo, exec_lo, s12
	s_and_saveexec_b32 s7, s11
	s_cbranch_execz .LBB25_108
	s_branch .LBB25_132
.LBB25_113:                             ;   in Loop: Header=BB25_109 Depth=1
	v_cmp_gt_f64_e32 vcc_lo, 0, v[2:3]
	v_xor_b32_e32 v9, 0x80000000, v3
	v_xor_b32_e32 v10, 0x80000000, v5
	v_mov_b32_e32 v8, v2
	s_mov_b32 s7, exec_lo
                                        ; implicit-def: $vgpr12_vgpr13
	v_cndmask_b32_e32 v9, v3, v9, vcc_lo
	v_cmp_gt_f64_e32 vcc_lo, 0, v[4:5]
	v_cndmask_b32_e32 v11, v5, v10, vcc_lo
	v_mov_b32_e32 v10, v4
	v_cmpx_ngt_f64_e32 v[8:9], v[10:11]
	s_xor_b32 s7, exec_lo, s7
	s_cbranch_execz .LBB25_117
; %bb.114:                              ;   in Loop: Header=BB25_109 Depth=1
	v_mov_b32_e32 v12, 0
	v_mov_b32_e32 v13, 0
	s_mov_b32 s11, exec_lo
	v_cmpx_neq_f64_e32 0, v[4:5]
	s_cbranch_execz .LBB25_116
; %bb.115:                              ;   in Loop: Header=BB25_109 Depth=1
	v_div_scale_f64 v[12:13], null, v[10:11], v[10:11], v[8:9]
	v_div_scale_f64 v[25:26], vcc_lo, v[8:9], v[10:11], v[8:9]
	v_rcp_f64_e32 v[21:22], v[12:13]
	v_fma_f64 v[23:24], -v[12:13], v[21:22], 1.0
	v_fma_f64 v[21:22], v[21:22], v[23:24], v[21:22]
	v_fma_f64 v[23:24], -v[12:13], v[21:22], 1.0
	v_fma_f64 v[21:22], v[21:22], v[23:24], v[21:22]
	v_mul_f64 v[23:24], v[25:26], v[21:22]
	v_fma_f64 v[12:13], -v[12:13], v[23:24], v[25:26]
	v_div_fmas_f64 v[12:13], v[12:13], v[21:22], v[23:24]
	v_div_fixup_f64 v[8:9], v[12:13], v[10:11], v[8:9]
	v_fma_f64 v[8:9], v[8:9], v[8:9], 1.0
	v_cmp_gt_f64_e32 vcc_lo, 0x10000000, v[8:9]
	v_cndmask_b32_e64 v12, 0, 0x100, vcc_lo
	v_ldexp_f64 v[8:9], v[8:9], v12
	v_rsq_f64_e32 v[12:13], v[8:9]
	v_mul_f64 v[21:22], v[8:9], v[12:13]
	v_mul_f64 v[12:13], v[12:13], 0.5
	v_fma_f64 v[23:24], -v[12:13], v[21:22], 0.5
	v_fma_f64 v[21:22], v[21:22], v[23:24], v[21:22]
	v_fma_f64 v[12:13], v[12:13], v[23:24], v[12:13]
	v_fma_f64 v[23:24], -v[21:22], v[21:22], v[8:9]
	v_fma_f64 v[21:22], v[23:24], v[12:13], v[21:22]
	v_fma_f64 v[23:24], -v[21:22], v[21:22], v[8:9]
	v_fma_f64 v[12:13], v[23:24], v[12:13], v[21:22]
	v_cndmask_b32_e64 v21, 0, 0xffffff80, vcc_lo
	v_cmp_class_f64_e64 vcc_lo, v[8:9], 0x260
	v_ldexp_f64 v[12:13], v[12:13], v21
	v_cndmask_b32_e32 v9, v13, v9, vcc_lo
	v_cndmask_b32_e32 v8, v12, v8, vcc_lo
	v_mul_f64 v[12:13], v[10:11], v[8:9]
.LBB25_116:                             ;   in Loop: Header=BB25_109 Depth=1
	s_or_b32 exec_lo, exec_lo, s11
                                        ; implicit-def: $vgpr8_vgpr9
                                        ; implicit-def: $vgpr10_vgpr11
.LBB25_117:                             ;   in Loop: Header=BB25_109 Depth=1
	s_andn2_saveexec_b32 s7, s7
	s_cbranch_execz .LBB25_119
; %bb.118:                              ;   in Loop: Header=BB25_109 Depth=1
	v_div_scale_f64 v[12:13], null, v[8:9], v[8:9], v[10:11]
	v_div_scale_f64 v[25:26], vcc_lo, v[10:11], v[8:9], v[10:11]
	v_rcp_f64_e32 v[21:22], v[12:13]
	v_fma_f64 v[23:24], -v[12:13], v[21:22], 1.0
	v_fma_f64 v[21:22], v[21:22], v[23:24], v[21:22]
	v_fma_f64 v[23:24], -v[12:13], v[21:22], 1.0
	v_fma_f64 v[21:22], v[21:22], v[23:24], v[21:22]
	v_mul_f64 v[23:24], v[25:26], v[21:22]
	v_fma_f64 v[12:13], -v[12:13], v[23:24], v[25:26]
	v_div_fmas_f64 v[12:13], v[12:13], v[21:22], v[23:24]
	v_div_fixup_f64 v[10:11], v[12:13], v[8:9], v[10:11]
	v_fma_f64 v[10:11], v[10:11], v[10:11], 1.0
	v_cmp_gt_f64_e32 vcc_lo, 0x10000000, v[10:11]
	v_cndmask_b32_e64 v12, 0, 0x100, vcc_lo
	v_ldexp_f64 v[10:11], v[10:11], v12
	v_rsq_f64_e32 v[12:13], v[10:11]
	v_mul_f64 v[21:22], v[10:11], v[12:13]
	v_mul_f64 v[12:13], v[12:13], 0.5
	v_fma_f64 v[23:24], -v[12:13], v[21:22], 0.5
	v_fma_f64 v[21:22], v[21:22], v[23:24], v[21:22]
	v_fma_f64 v[12:13], v[12:13], v[23:24], v[12:13]
	v_fma_f64 v[23:24], -v[21:22], v[21:22], v[10:11]
	v_fma_f64 v[21:22], v[23:24], v[12:13], v[21:22]
	v_fma_f64 v[23:24], -v[21:22], v[21:22], v[10:11]
	v_fma_f64 v[12:13], v[23:24], v[12:13], v[21:22]
	v_cndmask_b32_e64 v21, 0, 0xffffff80, vcc_lo
	v_cmp_class_f64_e64 vcc_lo, v[10:11], 0x260
	v_ldexp_f64 v[12:13], v[12:13], v21
	v_cndmask_b32_e32 v11, v13, v11, vcc_lo
	v_cndmask_b32_e32 v10, v12, v10, vcc_lo
	v_mul_f64 v[12:13], v[8:9], v[10:11]
.LBB25_119:                             ;   in Loop: Header=BB25_109 Depth=1
	s_or_b32 exec_lo, exec_lo, s7
	v_cmp_ge_f64_e32 vcc_lo, v[6:7], v[12:13]
	v_cndmask_b32_e32 v8, 16, v16, vcc_lo
	s_clause 0x3
	buffer_load_dword v9, v8, s[0:3], 0 offen
	buffer_load_dword v10, v8, s[0:3], 0 offen offset:4
	buffer_load_dword v11, v8, s[0:3], 0 offen offset:8
	;; [unrolled: 1-line block ×3, first 2 shown]
	s_waitcnt vmcnt(3)
	buffer_store_dword v9, off, s[0:3], 0 offset:16
	s_waitcnt vmcnt(2)
	buffer_store_dword v10, off, s[0:3], 0 offset:20
	;; [unrolled: 2-line block ×4, first 2 shown]
	s_waitcnt_vscnt null, 0x0
	buffer_gl0_inv
	s_and_saveexec_b32 s7, s6
	s_cbranch_execz .LBB25_121
; %bb.120:                              ;   in Loop: Header=BB25_109 Depth=1
	s_clause 0x3
	buffer_load_dword v8, off, s[0:3], 0 offset:16
	buffer_load_dword v9, off, s[0:3], 0 offset:20
	;; [unrolled: 1-line block ×4, first 2 shown]
	s_waitcnt vmcnt(0)
	ds_write2_b64 v20, v[8:9], v[10:11] offset1:1
.LBB25_121:                             ;   in Loop: Header=BB25_109 Depth=1
	s_or_b32 exec_lo, exec_lo, s7
	s_mov_b32 s12, -1
	s_mov_b32 s11, 0
	s_branch .LBB25_111
.LBB25_122:                             ;   in Loop: Header=BB25_109 Depth=1
	v_cmp_neq_f64_e32 vcc_lo, 0, v[2:3]
	v_cmp_neq_f64_e64 s7, 0, v[4:5]
	s_andn2_b32 s12, s12, exec_lo
	s_mov_b32 s11, -1
	s_or_b32 s7, vcc_lo, s7
	s_and_b32 s7, s7, exec_lo
	s_or_b32 s12, s12, s7
                                        ; implicit-def: $vgpr8
	s_and_saveexec_b32 s7, s12
	s_xor_b32 s12, exec_lo, s7
	s_cbranch_execz .LBB25_112
.LBB25_123:                             ;   in Loop: Header=BB25_109 Depth=1
	v_add_nc_u32_e32 v8, 1, v18
	s_mov_b32 s13, exec_lo
	v_add_nc_u32_e32 v9, v8, v0
	v_cmpx_gt_i32_e64 s27, v9
	s_cbranch_execz .LBB25_131
; %bb.124:                              ;   in Loop: Header=BB25_109 Depth=1
	v_add_nc_u32_e32 v10, v8, v1
	v_mov_b32_e32 v11, v15
	s_mov_b32 s14, 0
	v_cmp_gt_i32_e64 s7, s27, v10
	s_branch .LBB25_126
.LBB25_125:                             ;   in Loop: Header=BB25_126 Depth=2
	s_or_b32 exec_lo, exec_lo, s15
	v_add_nc_u32_e32 v9, 32, v9
	v_add_nc_u32_e32 v11, 0x200, v11
	v_cmp_le_i32_e32 vcc_lo, s27, v9
	s_or_b32 s14, vcc_lo, s14
	s_andn2_b32 exec_lo, exec_lo, s14
	s_cbranch_execz .LBB25_131
.LBB25_126:                             ;   Parent Loop BB25_109 Depth=1
                                        ; =>  This Loop Header: Depth=2
                                        ;       Child Loop BB25_130 Depth 3
	s_clause 0x3
	buffer_load_dword v20, off, s[0:3], 0 offset:24
	buffer_load_dword v21, off, s[0:3], 0 offset:28
	;; [unrolled: 1-line block ×4, first 2 shown]
	v_lshl_add_u32 v12, v9, 4, v19
	s_waitcnt vmcnt(2)
	v_mul_f64 v[2:3], v[20:21], v[20:21]
	s_waitcnt vmcnt(0)
	v_fma_f64 v[24:25], v[22:23], v[22:23], v[2:3]
	v_div_scale_f64 v[26:27], null, v[24:25], v[24:25], 1.0
	v_div_scale_f64 v[28:29], vcc_lo, 1.0, v[24:25], 1.0
	v_rcp_f64_e32 v[2:3], v[26:27]
	v_fma_f64 v[4:5], -v[26:27], v[2:3], 1.0
	v_fma_f64 v[2:3], v[2:3], v[4:5], v[2:3]
	v_fma_f64 v[4:5], -v[26:27], v[2:3], 1.0
	v_fma_f64 v[30:31], v[2:3], v[4:5], v[2:3]
	ds_read_b128 v[2:5], v12
	s_waitcnt lgkmcnt(0)
	s_waitcnt_vscnt null, 0x0
	buffer_gl0_inv
	v_mul_f64 v[32:33], v[28:29], v[30:31]
	v_fma_f64 v[26:27], -v[26:27], v[32:33], v[28:29]
	v_mul_f64 v[28:29], v[4:5], v[20:21]
	v_mul_f64 v[20:21], v[20:21], -v[2:3]
	v_div_fmas_f64 v[26:27], v[26:27], v[30:31], v[32:33]
	v_fma_f64 v[2:3], v[2:3], v[22:23], v[28:29]
	v_fma_f64 v[4:5], v[4:5], v[22:23], v[20:21]
	v_div_fixup_f64 v[24:25], v[26:27], v[24:25], 1.0
	v_mul_f64 v[2:3], v[2:3], v[24:25]
	v_mul_f64 v[4:5], v[4:5], v[24:25]
	s_and_saveexec_b32 s15, s5
; %bb.127:                              ;   in Loop: Header=BB25_126 Depth=2
	ds_write_b128 v12, v[2:5]
; %bb.128:                              ;   in Loop: Header=BB25_126 Depth=2
	s_or_b32 exec_lo, exec_lo, s15
	s_and_saveexec_b32 s15, s7
	s_cbranch_execz .LBB25_125
; %bb.129:                              ;   in Loop: Header=BB25_126 Depth=2
	v_mov_b32_e32 v12, v14
	v_mov_b32_e32 v13, v11
	;; [unrolled: 1-line block ×3, first 2 shown]
	s_mov_b32 s18, 0
	.p2align	6
.LBB25_130:                             ;   Parent Loop BB25_109 Depth=1
                                        ;     Parent Loop BB25_126 Depth=2
                                        ; =>    This Inner Loop Header: Depth=3
	ds_read_b128 v[21:24], v12
	ds_read_b128 v[25:28], v13
	v_add_nc_u32_e32 v20, 2, v20
	v_add_nc_u32_e32 v12, 0x420, v12
	v_cmp_le_i32_e32 vcc_lo, s27, v20
	s_or_b32 s18, vcc_lo, s18
	s_waitcnt lgkmcnt(0)
	v_fma_f64 v[25:26], -v[2:3], v[21:22], v[25:26]
	v_fma_f64 v[27:28], -v[4:5], v[21:22], v[27:28]
	v_fma_f64 v[21:22], v[4:5], v[23:24], v[25:26]
	v_fma_f64 v[23:24], -v[2:3], v[23:24], v[27:28]
	ds_write_b128 v13, v[21:24]
	v_add_nc_u32_e32 v13, 0x420, v13
	s_andn2_b32 exec_lo, exec_lo, s18
	s_cbranch_execnz .LBB25_130
	s_branch .LBB25_125
.LBB25_131:                             ;   in Loop: Header=BB25_109 Depth=1
	s_or_b32 exec_lo, exec_lo, s13
	s_andn2_b32 s11, s11, exec_lo
	s_or_b32 exec_lo, exec_lo, s12
	s_and_saveexec_b32 s7, s11
	s_cbranch_execz .LBB25_108
.LBB25_132:                             ;   in Loop: Header=BB25_109 Depth=1
	v_add_nc_u32_e32 v8, 1, v18
	s_or_b32 s9, s9, exec_lo
	s_branch .LBB25_108
.LBB25_133:
	s_or_b32 exec_lo, exec_lo, s10
	s_waitcnt lgkmcnt(0)
	s_waitcnt_vscnt null, 0x0
	buffer_gl0_inv
	s_and_saveexec_b32 s6, s4
	s_cbranch_execnz .LBB25_135
	s_branch .LBB25_144
.LBB25_134:
	s_mov_b32 s8, s9
	buffer_gl0_inv
	s_and_saveexec_b32 s6, s4
	s_cbranch_execz .LBB25_144
.LBB25_135:
	s_mul_i32 s7, s34, s27
	v_lshlrev_b32_e32 v3, 4, v0
	v_add_nc_u32_e32 v2, s7, v0
	v_cmp_gt_u32_e64 s4, s27, v1
	s_cmp_lg_u32 s36, 0
	s_mov_b32 s9, 0
	v_mad_u32_u24 v6, 0x210, v1, v3
	v_mul_lo_u32 v5, s27, v2
	v_mov_b32_e32 v2, v0
	s_cselect_b32 s10, -1, 0
	s_lshl_b32 s11, s27, 5
	s_inst_prefetch 0x1
	s_branch .LBB25_137
	.p2align	6
.LBB25_136:                             ;   in Loop: Header=BB25_137 Depth=1
	s_or_b32 exec_lo, exec_lo, s12
	v_add_nc_u32_e32 v2, 32, v2
	v_add_nc_u32_e32 v5, s11, v5
	;; [unrolled: 1-line block ×3, first 2 shown]
	v_cmp_le_i32_e32 vcc_lo, s27, v2
	s_or_b32 s9, vcc_lo, s9
	s_andn2_b32 exec_lo, exec_lo, s9
	s_cbranch_execz .LBB25_144
.LBB25_137:                             ; =>This Loop Header: Depth=1
                                        ;     Child Loop BB25_140 Depth 2
	s_and_saveexec_b32 s12, s4
	s_cbranch_execz .LBB25_136
; %bb.138:                              ;   in Loop: Header=BB25_137 Depth=1
	v_mov_b32_e32 v7, v6
	v_mov_b32_e32 v8, v1
	s_mov_b32 s13, 0
	s_branch .LBB25_140
	.p2align	6
.LBB25_139:                             ;   in Loop: Header=BB25_140 Depth=2
	ds_read2_b64 v[9:12], v7 offset1:1
	v_ashrrev_i32_e32 v4, 31, v3
	v_add_nc_u32_e32 v8, 2, v8
	v_add_nc_u32_e32 v7, 0x420, v7
	v_lshlrev_b64 v[3:4], 4, v[3:4]
	v_cmp_le_i32_e32 vcc_lo, s27, v8
	s_or_b32 s13, vcc_lo, s13
	v_add_co_u32 v3, s5, s16, v3
	v_add_co_ci_u32_e64 v4, null, s17, v4, s5
	s_waitcnt lgkmcnt(0)
	global_store_dwordx4 v[3:4], v[9:12], off
	s_andn2_b32 exec_lo, exec_lo, s13
	s_cbranch_execz .LBB25_136
.LBB25_140:                             ;   Parent Loop BB25_137 Depth=1
                                        ; =>  This Inner Loop Header: Depth=2
	s_and_b32 vcc_lo, exec_lo, s10
	s_cbranch_vccz .LBB25_142
; %bb.141:                              ;   in Loop: Header=BB25_140 Depth=2
	v_add_nc_u32_e32 v3, s7, v8
	v_mad_u64_u32 v[3:4], null, v3, s27, v[2:3]
	s_cbranch_execnz .LBB25_139
	s_branch .LBB25_143
	.p2align	6
.LBB25_142:                             ;   in Loop: Header=BB25_140 Depth=2
                                        ; implicit-def: $vgpr3
.LBB25_143:                             ;   in Loop: Header=BB25_140 Depth=2
	v_add_nc_u32_e32 v3, v5, v8
	s_branch .LBB25_139
.LBB25_144:
	s_inst_prefetch 0x2
	s_or_b32 exec_lo, exec_lo, s6
	s_add_i32 s9, s34, 1
	s_cmp_ge_i32 s9, s29
	s_cbranch_scc1 .LBB25_196
.LBB25_145:
	v_mad_u64_u32 v[2:3], null, s27, s9, v[0:1]
	v_lshlrev_b32_e32 v3, 4, v1
	s_cmp_lg_u32 s36, 0
	v_mul_u32_u24_e32 v4, 0x210, v1
	s_cselect_b32 s10, -1, 0
	s_cmp_gt_i32 s27, 0
	v_lshlrev_b32_e32 v5, 4, v0
	s_cselect_b32 s11, -1, 0
	s_cmp_lg_u32 s27, 1
	v_mad_u32_u24 v11, 0x210, v0, v3
	s_cselect_b32 s12, -1, 0
	s_and_b32 s13, s27, 0x7ffffffe
	s_bitcmp1_b32 s27, 0
	s_movk_i32 s7, 0x4210
	v_cmp_gt_i32_e64 s4, s27, v0
	v_cmp_le_i32_e64 s5, s27, v0
	v_cmp_gt_i32_e64 s6, s27, v1
	v_add_nc_u32_e32 v6, 1, v1
	v_mul_lo_u32 v7, s27, v2
	v_add3_u32 v8, v4, v5, 0x4200
	v_add_nc_u32_e32 v9, 0x4210, v11
	v_add_nc_u32_e32 v2, 16, v3
	;; [unrolled: 1-line block ×4, first 2 shown]
	v_mad_u32_u24 v12, 0x210, v0, s7
	s_cselect_b32 s14, -1, 0
	s_mul_i32 s15, s27, s27
	s_lshl_b32 s18, s27, 5
	s_branch .LBB25_148
.LBB25_146:                             ;   in Loop: Header=BB25_148 Depth=1
	s_inst_prefetch 0x2
	s_or_b32 exec_lo, exec_lo, s20
.LBB25_147:                             ;   in Loop: Header=BB25_148 Depth=1
	s_or_b32 exec_lo, exec_lo, s19
	v_add_nc_u32_e32 v7, s15, v7
	s_add_i32 s9, s9, 1
	s_cmp_ge_i32 s9, s29
	s_cbranch_scc1 .LBB25_196
.LBB25_148:                             ; =>This Loop Header: Depth=1
                                        ;     Child Loop BB25_151 Depth 2
                                        ;       Child Loop BB25_154 Depth 3
                                        ;     Child Loop BB25_162 Depth 2
                                        ;       Child Loop BB25_165 Depth 3
                                        ;         Child Loop BB25_167 Depth 4
                                        ;       Child Loop BB25_170 Depth 3
                                        ;         Child Loop BB25_172 Depth 4
                                        ;     Child Loop BB25_179 Depth 2
                                        ;       Child Loop BB25_181 Depth 3
                                        ;     Child Loop BB25_189 Depth 2
                                        ;       Child Loop BB25_192 Depth 3
	s_waitcnt lgkmcnt(0)
	s_waitcnt_vscnt null, 0x0
	buffer_gl0_inv
	s_and_saveexec_b32 s7, s4
	s_cbranch_execz .LBB25_158
; %bb.149:                              ;   in Loop: Header=BB25_148 Depth=1
	v_mov_b32_e32 v13, v8
	v_mov_b32_e32 v14, v7
	;; [unrolled: 1-line block ×3, first 2 shown]
	s_mul_i32 s19, s9, s27
	s_mov_b32 s20, 0
	s_inst_prefetch 0x1
	s_branch .LBB25_151
	.p2align	6
.LBB25_150:                             ;   in Loop: Header=BB25_151 Depth=2
	s_or_b32 exec_lo, exec_lo, s21
	v_add_nc_u32_e32 v3, 32, v3
	v_add_nc_u32_e32 v14, s18, v14
	;; [unrolled: 1-line block ×3, first 2 shown]
	v_cmp_le_i32_e32 vcc_lo, s27, v3
	s_or_b32 s20, vcc_lo, s20
	s_andn2_b32 exec_lo, exec_lo, s20
	s_cbranch_execz .LBB25_158
.LBB25_151:                             ;   Parent Loop BB25_148 Depth=1
                                        ; =>  This Loop Header: Depth=2
                                        ;       Child Loop BB25_154 Depth 3
	s_and_saveexec_b32 s21, s6
	s_cbranch_execz .LBB25_150
; %bb.152:                              ;   in Loop: Header=BB25_151 Depth=2
	v_mov_b32_e32 v15, v13
	v_mov_b32_e32 v16, v1
	s_mov_b32 s33, 0
	s_branch .LBB25_154
	.p2align	6
.LBB25_153:                             ;   in Loop: Header=BB25_154 Depth=3
	v_ashrrev_i32_e32 v5, 31, v4
	v_add_nc_u32_e32 v16, 2, v16
	v_lshlrev_b64 v[4:5], 4, v[4:5]
	v_add_co_u32 v4, vcc_lo, s16, v4
	v_add_co_ci_u32_e64 v5, null, s17, v5, vcc_lo
	v_cmp_le_i32_e32 vcc_lo, s27, v16
	global_load_dwordx4 v[17:20], v[4:5], off
	s_or_b32 s33, vcc_lo, s33
	s_waitcnt vmcnt(0)
	ds_write2_b64 v15, v[17:18], v[19:20] offset1:1
	v_add_nc_u32_e32 v15, 0x420, v15
	s_andn2_b32 exec_lo, exec_lo, s33
	s_cbranch_execz .LBB25_150
.LBB25_154:                             ;   Parent Loop BB25_148 Depth=1
                                        ;     Parent Loop BB25_151 Depth=2
                                        ; =>    This Inner Loop Header: Depth=3
	s_and_b32 vcc_lo, exec_lo, s10
	s_cbranch_vccz .LBB25_156
; %bb.155:                              ;   in Loop: Header=BB25_154 Depth=3
	v_add_nc_u32_e32 v4, s19, v16
	v_mad_u64_u32 v[4:5], null, v4, s27, v[3:4]
	s_cbranch_execnz .LBB25_153
	s_branch .LBB25_157
	.p2align	6
.LBB25_156:                             ;   in Loop: Header=BB25_154 Depth=3
                                        ; implicit-def: $vgpr4
.LBB25_157:                             ;   in Loop: Header=BB25_154 Depth=3
	v_add_nc_u32_e32 v4, v14, v16
	s_branch .LBB25_153
.LBB25_158:                             ;   in Loop: Header=BB25_148 Depth=1
	s_inst_prefetch 0x2
	s_or_b32 exec_lo, exec_lo, s7
	s_andn2_b32 vcc_lo, exec_lo, s11
	s_waitcnt lgkmcnt(0)
	buffer_gl0_inv
	s_cbranch_vccnz .LBB25_182
; %bb.159:                              ;   in Loop: Header=BB25_148 Depth=1
	s_andn2_b32 vcc_lo, exec_lo, s12
	s_mov_b32 s7, 0
	s_cbranch_vccnz .LBB25_173
; %bb.160:                              ;   in Loop: Header=BB25_148 Depth=1
	v_mov_b32_e32 v3, v11
	v_mov_b32_e32 v4, v10
	v_mov_b32_e32 v5, v2
	v_mov_b32_e32 v13, v9
	s_mov_b32 s19, 0
	s_branch .LBB25_162
.LBB25_161:                             ;   in Loop: Header=BB25_162 Depth=2
	s_inst_prefetch 0x2
	s_or_b32 exec_lo, exec_lo, s20
	v_add_nc_u32_e32 v13, 32, v13
	v_add_nc_u32_e32 v5, 0x440, v5
	v_add_nc_u32_e32 v4, 0x440, v4
	v_add_nc_u32_e32 v3, 32, v3
	s_add_i32 s19, s19, 2
	s_mov_b32 s7, s13
	s_cmp_eq_u32 s19, s13
	s_cbranch_scc1 .LBB25_173
.LBB25_162:                             ;   Parent Loop BB25_148 Depth=1
                                        ; =>  This Loop Header: Depth=2
                                        ;       Child Loop BB25_165 Depth 3
                                        ;         Child Loop BB25_167 Depth 4
                                        ;       Child Loop BB25_170 Depth 3
                                        ;         Child Loop BB25_172 Depth 4
	s_and_saveexec_b32 s20, s4
	s_cbranch_execz .LBB25_161
; %bb.163:                              ;   in Loop: Header=BB25_162 Depth=2
	v_add_nc_u32_e32 v14, s19, v6
	v_mov_b32_e32 v15, v13
	v_mov_b32_e32 v16, v0
	s_mov_b32 s33, 0
	s_lshl_b32 s21, s19, 4
	v_cmp_gt_i32_e32 vcc_lo, s27, v14
	s_inst_prefetch 0x1
	s_branch .LBB25_165
	.p2align	6
.LBB25_164:                             ;   in Loop: Header=BB25_165 Depth=3
	s_or_b32 exec_lo, exec_lo, s34
	v_add_nc_u32_e32 v16, 32, v16
	v_add_nc_u32_e32 v15, 0x4200, v15
	v_cmp_le_i32_e64 s7, s27, v16
	s_or_b32 s33, s7, s33
	s_andn2_b32 exec_lo, exec_lo, s33
	s_cbranch_execz .LBB25_168
.LBB25_165:                             ;   Parent Loop BB25_148 Depth=1
                                        ;     Parent Loop BB25_162 Depth=2
                                        ; =>    This Loop Header: Depth=3
                                        ;         Child Loop BB25_167 Depth 4
	s_and_saveexec_b32 s34, vcc_lo
	s_cbranch_execz .LBB25_164
; %bb.166:                              ;   in Loop: Header=BB25_165 Depth=3
	v_mul_lo_u32 v19, 0x210, v16
	v_mov_b32_e32 v17, v5
	v_mov_b32_e32 v18, v15
	;; [unrolled: 1-line block ×3, first 2 shown]
	s_mov_b32 s35, 0
	v_add3_u32 v19, 0x4200, s21, v19
	.p2align	6
.LBB25_167:                             ;   Parent Loop BB25_148 Depth=1
                                        ;     Parent Loop BB25_162 Depth=2
                                        ;       Parent Loop BB25_165 Depth=3
                                        ; =>      This Inner Loop Header: Depth=4
	ds_read_b128 v[21:24], v17
	ds_read_b128 v[25:28], v19
	;; [unrolled: 1-line block ×3, first 2 shown]
	v_add_nc_u32_e32 v20, 2, v20
	v_add_nc_u32_e32 v17, 32, v17
	v_cmp_le_i32_e64 s7, s27, v20
	s_or_b32 s35, s7, s35
	s_waitcnt lgkmcnt(0)
	v_fma_f64 v[29:30], -v[21:22], v[25:26], v[29:30]
	v_fma_f64 v[25:26], -v[23:24], v[25:26], v[31:32]
	v_fma_f64 v[23:24], v[23:24], v[27:28], v[29:30]
	v_fma_f64 v[25:26], -v[21:22], v[27:28], v[25:26]
	ds_write_b128 v18, v[23:26]
	v_add_nc_u32_e32 v18, 32, v18
	s_andn2_b32 exec_lo, exec_lo, s35
	s_cbranch_execnz .LBB25_167
	s_branch .LBB25_164
.LBB25_168:                             ;   in Loop: Header=BB25_162 Depth=2
	s_inst_prefetch 0x2
	s_or_b32 exec_lo, exec_lo, s33
	v_add3_u32 v14, v6, s19, 1
	v_mov_b32_e32 v15, v3
	v_mov_b32_e32 v16, v0
	s_mov_b32 s33, 0
	v_cmp_gt_i32_e32 vcc_lo, s27, v14
	s_inst_prefetch 0x1
	s_branch .LBB25_170
	.p2align	6
.LBB25_169:                             ;   in Loop: Header=BB25_170 Depth=3
	s_or_b32 exec_lo, exec_lo, s34
	v_add_nc_u32_e32 v16, 32, v16
	v_add_nc_u32_e32 v15, 0x4200, v15
	v_cmp_le_i32_e64 s7, s27, v16
	s_or_b32 s33, s7, s33
	s_andn2_b32 exec_lo, exec_lo, s33
	s_cbranch_execz .LBB25_161
.LBB25_170:                             ;   Parent Loop BB25_148 Depth=1
                                        ;     Parent Loop BB25_162 Depth=2
                                        ; =>    This Loop Header: Depth=3
                                        ;         Child Loop BB25_172 Depth 4
	s_and_saveexec_b32 s34, vcc_lo
	s_cbranch_execz .LBB25_169
; %bb.171:                              ;   in Loop: Header=BB25_170 Depth=3
	v_mul_lo_u32 v19, 0x210, v16
	v_mov_b32_e32 v17, v15
	v_mov_b32_e32 v18, v4
	;; [unrolled: 1-line block ×3, first 2 shown]
	s_mov_b32 s35, 0
	v_add3_u32 v19, 0x4200, s21, v19
	.p2align	6
.LBB25_172:                             ;   Parent Loop BB25_148 Depth=1
                                        ;     Parent Loop BB25_162 Depth=2
                                        ;       Parent Loop BB25_170 Depth=3
                                        ; =>      This Inner Loop Header: Depth=4
	ds_read_b128 v[21:24], v18
	ds_read_b128 v[25:28], v19 offset:16
	ds_read_b128 v[29:32], v17
	v_add_nc_u32_e32 v20, 2, v20
	v_add_nc_u32_e32 v18, 32, v18
	v_cmp_le_i32_e64 s7, s27, v20
	s_or_b32 s35, s7, s35
	s_waitcnt lgkmcnt(0)
	v_fma_f64 v[29:30], -v[21:22], v[25:26], v[29:30]
	v_fma_f64 v[25:26], -v[23:24], v[25:26], v[31:32]
	v_fma_f64 v[23:24], v[23:24], v[27:28], v[29:30]
	v_fma_f64 v[25:26], -v[21:22], v[27:28], v[25:26]
	ds_write_b128 v17, v[23:26]
	v_add_nc_u32_e32 v17, 32, v17
	s_andn2_b32 exec_lo, exec_lo, s35
	s_cbranch_execnz .LBB25_172
	s_branch .LBB25_169
.LBB25_173:                             ;   in Loop: Header=BB25_148 Depth=1
	s_andn2_b32 vcc_lo, exec_lo, s14
	s_mov_b32 s20, -1
	s_cbranch_vccnz .LBB25_183
; %bb.174:                              ;   in Loop: Header=BB25_148 Depth=1
	s_and_saveexec_b32 s19, s5
	s_xor_b32 s19, exec_lo, s19
	s_cbranch_execz .LBB25_176
; %bb.175:                              ;   in Loop: Header=BB25_148 Depth=1
	s_waitcnt lgkmcnt(0)
	buffer_gl0_inv
.LBB25_176:                             ;   in Loop: Header=BB25_148 Depth=1
	s_or_saveexec_b32 s19, s19
	s_mov_b32 s20, 0
	s_xor_b32 exec_lo, exec_lo, s19
	s_cbranch_execz .LBB25_185
; %bb.177:                              ;   in Loop: Header=BB25_148 Depth=1
	v_add_nc_u32_e32 v13, s7, v1
	v_mad_u64_u32 v[3:4], null, 0x220, s7, v[2:3]
	v_add_nc_u32_e32 v5, s7, v6
	s_lshl_b32 s21, s7, 4
	v_lshl_add_u32 v4, v13, 4, v12
	v_mov_b32_e32 v13, v0
	v_cmp_gt_i32_e32 vcc_lo, s27, v5
	s_inst_prefetch 0x1
	s_branch .LBB25_179
	.p2align	6
.LBB25_178:                             ;   in Loop: Header=BB25_179 Depth=2
	s_or_b32 exec_lo, exec_lo, s33
	v_add_nc_u32_e32 v13, 32, v13
	v_add_nc_u32_e32 v4, 0x4200, v4
	v_cmp_le_i32_e64 s7, s27, v13
	s_or_b32 s20, s7, s20
	s_andn2_b32 exec_lo, exec_lo, s20
	s_cbranch_execz .LBB25_184
.LBB25_179:                             ;   Parent Loop BB25_148 Depth=1
                                        ; =>  This Loop Header: Depth=2
                                        ;       Child Loop BB25_181 Depth 3
	s_and_saveexec_b32 s33, vcc_lo
	s_cbranch_execz .LBB25_178
; %bb.180:                              ;   in Loop: Header=BB25_179 Depth=2
	v_mul_lo_u32 v16, 0x210, v13
	v_mov_b32_e32 v14, v3
	v_mov_b32_e32 v15, v4
	v_mov_b32_e32 v17, v5
	s_mov_b32 s34, 0
	v_add3_u32 v16, 0x4200, s21, v16
	.p2align	6
.LBB25_181:                             ;   Parent Loop BB25_148 Depth=1
                                        ;     Parent Loop BB25_179 Depth=2
                                        ; =>    This Inner Loop Header: Depth=3
	ds_read_b128 v[18:21], v14
	ds_read_b128 v[22:25], v16
	;; [unrolled: 1-line block ×3, first 2 shown]
	v_add_nc_u32_e32 v17, 2, v17
	v_add_nc_u32_e32 v14, 32, v14
	v_cmp_le_i32_e64 s7, s27, v17
	s_or_b32 s34, s7, s34
	s_waitcnt lgkmcnt(0)
	v_fma_f64 v[26:27], -v[18:19], v[22:23], v[26:27]
	v_fma_f64 v[22:23], -v[20:21], v[22:23], v[28:29]
	v_fma_f64 v[20:21], v[20:21], v[24:25], v[26:27]
	v_fma_f64 v[22:23], -v[18:19], v[24:25], v[22:23]
	ds_write_b128 v15, v[20:23]
	v_add_nc_u32_e32 v15, 32, v15
	s_andn2_b32 exec_lo, exec_lo, s34
	s_cbranch_execnz .LBB25_181
	s_branch .LBB25_178
.LBB25_182:                             ;   in Loop: Header=BB25_148 Depth=1
	s_mov_b32 s20, -1
.LBB25_183:                             ;   in Loop: Header=BB25_148 Depth=1
	s_and_saveexec_b32 s7, s20
	s_xor_b32 s19, exec_lo, s7
	s_cbranch_execz .LBB25_147
	s_branch .LBB25_186
.LBB25_184:                             ;   in Loop: Header=BB25_148 Depth=1
	s_inst_prefetch 0x2
	s_or_b32 exec_lo, exec_lo, s20
	s_mov_b32 s20, exec_lo
.LBB25_185:                             ;   in Loop: Header=BB25_148 Depth=1
	s_or_b32 exec_lo, exec_lo, s19
	s_and_saveexec_b32 s7, s20
	s_xor_b32 s19, exec_lo, s7
	s_cbranch_execz .LBB25_147
.LBB25_186:                             ;   in Loop: Header=BB25_148 Depth=1
	s_waitcnt lgkmcnt(0)
	buffer_gl0_inv
	s_and_saveexec_b32 s20, s4
	s_cbranch_execz .LBB25_146
; %bb.187:                              ;   in Loop: Header=BB25_148 Depth=1
	v_mov_b32_e32 v13, v8
	v_mov_b32_e32 v14, v7
	;; [unrolled: 1-line block ×3, first 2 shown]
	s_mul_i32 s21, s9, s27
	s_mov_b32 s33, 0
	s_inst_prefetch 0x1
	s_branch .LBB25_189
	.p2align	6
.LBB25_188:                             ;   in Loop: Header=BB25_189 Depth=2
	s_or_b32 exec_lo, exec_lo, s34
	v_add_nc_u32_e32 v3, 32, v3
	v_add_nc_u32_e32 v14, s18, v14
	;; [unrolled: 1-line block ×3, first 2 shown]
	v_cmp_le_i32_e32 vcc_lo, s27, v3
	s_or_b32 s33, vcc_lo, s33
	s_andn2_b32 exec_lo, exec_lo, s33
	s_cbranch_execz .LBB25_146
.LBB25_189:                             ;   Parent Loop BB25_148 Depth=1
                                        ; =>  This Loop Header: Depth=2
                                        ;       Child Loop BB25_192 Depth 3
	s_and_saveexec_b32 s34, s6
	s_cbranch_execz .LBB25_188
; %bb.190:                              ;   in Loop: Header=BB25_189 Depth=2
	v_mov_b32_e32 v15, v13
	v_mov_b32_e32 v16, v1
	s_mov_b32 s35, 0
	s_branch .LBB25_192
	.p2align	6
.LBB25_191:                             ;   in Loop: Header=BB25_192 Depth=3
	ds_read2_b64 v[17:20], v15 offset1:1
	v_ashrrev_i32_e32 v5, 31, v4
	v_add_nc_u32_e32 v16, 2, v16
	v_add_nc_u32_e32 v15, 0x420, v15
	v_lshlrev_b64 v[4:5], 4, v[4:5]
	v_cmp_le_i32_e32 vcc_lo, s27, v16
	s_or_b32 s35, vcc_lo, s35
	v_add_co_u32 v4, s7, s16, v4
	v_add_co_ci_u32_e64 v5, null, s17, v5, s7
	s_waitcnt lgkmcnt(0)
	global_store_dwordx4 v[4:5], v[17:20], off
	s_andn2_b32 exec_lo, exec_lo, s35
	s_cbranch_execz .LBB25_188
.LBB25_192:                             ;   Parent Loop BB25_148 Depth=1
                                        ;     Parent Loop BB25_189 Depth=2
                                        ; =>    This Inner Loop Header: Depth=3
	s_and_b32 vcc_lo, exec_lo, s10
	s_cbranch_vccz .LBB25_194
; %bb.193:                              ;   in Loop: Header=BB25_192 Depth=3
	v_add_nc_u32_e32 v4, s21, v16
	v_mad_u64_u32 v[4:5], null, v4, s27, v[3:4]
	s_cbranch_execnz .LBB25_191
	s_branch .LBB25_195
	.p2align	6
.LBB25_194:                             ;   in Loop: Header=BB25_192 Depth=3
                                        ; implicit-def: $vgpr4
.LBB25_195:                             ;   in Loop: Header=BB25_192 Depth=3
	v_add_nc_u32_e32 v4, v14, v16
	s_branch .LBB25_191
.LBB25_196:
	v_or_b32_e32 v0, v0, v1
	s_mov_b32 s4, exec_lo
	v_cmpx_eq_u32_e32 0, v0
	s_cbranch_execz .LBB25_200
; %bb.197:
	v_mov_b32_e32 v0, 0
	v_mov_b32_e32 v1, 1
	s_add_u32 s4, s24, s30
	s_addc_u32 s5, s25, s31
	s_waitcnt lgkmcnt(0)
	s_waitcnt_vscnt null, 0x0
	global_store_dword v0, v1, s[4:5]
	s_and_b32 exec_lo, exec_lo, s8
	s_cbranch_execz .LBB25_200
; %bb.198:
	v_mbcnt_lo_u32_b32 v0, exec_lo, 0
	v_cmp_eq_u32_e32 vcc_lo, 0, v0
	s_and_b32 exec_lo, exec_lo, vcc_lo
	s_cbranch_execz .LBB25_200
; %bb.199:
	s_add_i32 s4, s26, s28
	v_mov_b32_e32 v0, 0
	v_mov_b32_e32 v1, s4
	global_atomic_smin v0, v1, s[22:23]
.LBB25_200:
	s_endpgm
	.section	.rodata,"a",@progbits
	.p2align	6, 0x0
	.amdhsa_kernel _ZN9rocsparseL12bsrilu0_9_32ILj64ELj64ELj32E21rocsparse_complex_numIdEEEv20rocsparse_direction_iPKiS5_PT2_S5_iPiS5_S8_21rocsparse_index_base_imNS_24const_host_device_scalarIfEENSA_IdEENSA_IS6_EEb
		.amdhsa_group_segment_fixed_size 33792
		.amdhsa_private_segment_fixed_size 48
		.amdhsa_kernarg_size 124
		.amdhsa_user_sgpr_count 8
		.amdhsa_user_sgpr_private_segment_buffer 1
		.amdhsa_user_sgpr_dispatch_ptr 0
		.amdhsa_user_sgpr_queue_ptr 0
		.amdhsa_user_sgpr_kernarg_segment_ptr 1
		.amdhsa_user_sgpr_dispatch_id 0
		.amdhsa_user_sgpr_flat_scratch_init 1
		.amdhsa_user_sgpr_private_segment_size 0
		.amdhsa_wavefront_size32 1
		.amdhsa_uses_dynamic_stack 0
		.amdhsa_system_sgpr_private_segment_wavefront_offset 1
		.amdhsa_system_sgpr_workgroup_id_x 1
		.amdhsa_system_sgpr_workgroup_id_y 0
		.amdhsa_system_sgpr_workgroup_id_z 0
		.amdhsa_system_sgpr_workgroup_info 0
		.amdhsa_system_vgpr_workitem_id 1
		.amdhsa_next_free_vgpr 193
		.amdhsa_next_free_sgpr 49
		.amdhsa_reserve_vcc 1
		.amdhsa_reserve_flat_scratch 1
		.amdhsa_float_round_mode_32 0
		.amdhsa_float_round_mode_16_64 0
		.amdhsa_float_denorm_mode_32 3
		.amdhsa_float_denorm_mode_16_64 3
		.amdhsa_dx10_clamp 1
		.amdhsa_ieee_mode 1
		.amdhsa_fp16_overflow 0
		.amdhsa_workgroup_processor_mode 1
		.amdhsa_memory_ordered 1
		.amdhsa_forward_progress 1
		.amdhsa_shared_vgpr_count 0
		.amdhsa_exception_fp_ieee_invalid_op 0
		.amdhsa_exception_fp_denorm_src 0
		.amdhsa_exception_fp_ieee_div_zero 0
		.amdhsa_exception_fp_ieee_overflow 0
		.amdhsa_exception_fp_ieee_underflow 0
		.amdhsa_exception_fp_ieee_inexact 0
		.amdhsa_exception_int_div_zero 0
	.end_amdhsa_kernel
	.section	.text._ZN9rocsparseL12bsrilu0_9_32ILj64ELj64ELj32E21rocsparse_complex_numIdEEEv20rocsparse_direction_iPKiS5_PT2_S5_iPiS5_S8_21rocsparse_index_base_imNS_24const_host_device_scalarIfEENSA_IdEENSA_IS6_EEb,"axG",@progbits,_ZN9rocsparseL12bsrilu0_9_32ILj64ELj64ELj32E21rocsparse_complex_numIdEEEv20rocsparse_direction_iPKiS5_PT2_S5_iPiS5_S8_21rocsparse_index_base_imNS_24const_host_device_scalarIfEENSA_IdEENSA_IS6_EEb,comdat
.Lfunc_end25:
	.size	_ZN9rocsparseL12bsrilu0_9_32ILj64ELj64ELj32E21rocsparse_complex_numIdEEEv20rocsparse_direction_iPKiS5_PT2_S5_iPiS5_S8_21rocsparse_index_base_imNS_24const_host_device_scalarIfEENSA_IdEENSA_IS6_EEb, .Lfunc_end25-_ZN9rocsparseL12bsrilu0_9_32ILj64ELj64ELj32E21rocsparse_complex_numIdEEEv20rocsparse_direction_iPKiS5_PT2_S5_iPiS5_S8_21rocsparse_index_base_imNS_24const_host_device_scalarIfEENSA_IdEENSA_IS6_EEb
                                        ; -- End function
	.set _ZN9rocsparseL12bsrilu0_9_32ILj64ELj64ELj32E21rocsparse_complex_numIdEEEv20rocsparse_direction_iPKiS5_PT2_S5_iPiS5_S8_21rocsparse_index_base_imNS_24const_host_device_scalarIfEENSA_IdEENSA_IS6_EEb.num_vgpr, 44
	.set _ZN9rocsparseL12bsrilu0_9_32ILj64ELj64ELj32E21rocsparse_complex_numIdEEEv20rocsparse_direction_iPKiS5_PT2_S5_iPiS5_S8_21rocsparse_index_base_imNS_24const_host_device_scalarIfEENSA_IdEENSA_IS6_EEb.num_agpr, 0
	.set _ZN9rocsparseL12bsrilu0_9_32ILj64ELj64ELj32E21rocsparse_complex_numIdEEEv20rocsparse_direction_iPKiS5_PT2_S5_iPiS5_S8_21rocsparse_index_base_imNS_24const_host_device_scalarIfEENSA_IdEENSA_IS6_EEb.numbered_sgpr, 49
	.set _ZN9rocsparseL12bsrilu0_9_32ILj64ELj64ELj32E21rocsparse_complex_numIdEEEv20rocsparse_direction_iPKiS5_PT2_S5_iPiS5_S8_21rocsparse_index_base_imNS_24const_host_device_scalarIfEENSA_IdEENSA_IS6_EEb.num_named_barrier, 0
	.set _ZN9rocsparseL12bsrilu0_9_32ILj64ELj64ELj32E21rocsparse_complex_numIdEEEv20rocsparse_direction_iPKiS5_PT2_S5_iPiS5_S8_21rocsparse_index_base_imNS_24const_host_device_scalarIfEENSA_IdEENSA_IS6_EEb.private_seg_size, 48
	.set _ZN9rocsparseL12bsrilu0_9_32ILj64ELj64ELj32E21rocsparse_complex_numIdEEEv20rocsparse_direction_iPKiS5_PT2_S5_iPiS5_S8_21rocsparse_index_base_imNS_24const_host_device_scalarIfEENSA_IdEENSA_IS6_EEb.uses_vcc, 1
	.set _ZN9rocsparseL12bsrilu0_9_32ILj64ELj64ELj32E21rocsparse_complex_numIdEEEv20rocsparse_direction_iPKiS5_PT2_S5_iPiS5_S8_21rocsparse_index_base_imNS_24const_host_device_scalarIfEENSA_IdEENSA_IS6_EEb.uses_flat_scratch, 1
	.set _ZN9rocsparseL12bsrilu0_9_32ILj64ELj64ELj32E21rocsparse_complex_numIdEEEv20rocsparse_direction_iPKiS5_PT2_S5_iPiS5_S8_21rocsparse_index_base_imNS_24const_host_device_scalarIfEENSA_IdEENSA_IS6_EEb.has_dyn_sized_stack, 0
	.set _ZN9rocsparseL12bsrilu0_9_32ILj64ELj64ELj32E21rocsparse_complex_numIdEEEv20rocsparse_direction_iPKiS5_PT2_S5_iPiS5_S8_21rocsparse_index_base_imNS_24const_host_device_scalarIfEENSA_IdEENSA_IS6_EEb.has_recursion, 0
	.set _ZN9rocsparseL12bsrilu0_9_32ILj64ELj64ELj32E21rocsparse_complex_numIdEEEv20rocsparse_direction_iPKiS5_PT2_S5_iPiS5_S8_21rocsparse_index_base_imNS_24const_host_device_scalarIfEENSA_IdEENSA_IS6_EEb.has_indirect_call, 0
	.section	.AMDGPU.csdata,"",@progbits
; Kernel info:
; codeLenInByte = 7660
; TotalNumSgprs: 51
; NumVgprs: 44
; ScratchSize: 48
; MemoryBound: 0
; FloatMode: 240
; IeeeMode: 1
; LDSByteSize: 33792 bytes/workgroup (compile time only)
; SGPRBlocks: 0
; VGPRBlocks: 24
; NumSGPRsForWavesPerEU: 51
; NumVGPRsForWavesPerEU: 193
; Occupancy: 2
; WaveLimiterHint : 1
; COMPUTE_PGM_RSRC2:SCRATCH_EN: 1
; COMPUTE_PGM_RSRC2:USER_SGPR: 8
; COMPUTE_PGM_RSRC2:TRAP_HANDLER: 0
; COMPUTE_PGM_RSRC2:TGID_X_EN: 1
; COMPUTE_PGM_RSRC2:TGID_Y_EN: 0
; COMPUTE_PGM_RSRC2:TGID_Z_EN: 0
; COMPUTE_PGM_RSRC2:TIDIG_COMP_CNT: 1
	.section	.text._ZN9rocsparseL15bsrilu0_generalILj128ELj64ELb0E21rocsparse_complex_numIdEEEv20rocsparse_direction_iPKiS5_PT2_S5_iPiS5_S8_21rocsparse_index_base_imNS_24const_host_device_scalarIfEENSA_IdEENSA_IS6_EEb,"axG",@progbits,_ZN9rocsparseL15bsrilu0_generalILj128ELj64ELb0E21rocsparse_complex_numIdEEEv20rocsparse_direction_iPKiS5_PT2_S5_iPiS5_S8_21rocsparse_index_base_imNS_24const_host_device_scalarIfEENSA_IdEENSA_IS6_EEb,comdat
	.globl	_ZN9rocsparseL15bsrilu0_generalILj128ELj64ELb0E21rocsparse_complex_numIdEEEv20rocsparse_direction_iPKiS5_PT2_S5_iPiS5_S8_21rocsparse_index_base_imNS_24const_host_device_scalarIfEENSA_IdEENSA_IS6_EEb ; -- Begin function _ZN9rocsparseL15bsrilu0_generalILj128ELj64ELb0E21rocsparse_complex_numIdEEEv20rocsparse_direction_iPKiS5_PT2_S5_iPiS5_S8_21rocsparse_index_base_imNS_24const_host_device_scalarIfEENSA_IdEENSA_IS6_EEb
	.p2align	8
	.type	_ZN9rocsparseL15bsrilu0_generalILj128ELj64ELb0E21rocsparse_complex_numIdEEEv20rocsparse_direction_iPKiS5_PT2_S5_iPiS5_S8_21rocsparse_index_base_imNS_24const_host_device_scalarIfEENSA_IdEENSA_IS6_EEb,@function
_ZN9rocsparseL15bsrilu0_generalILj128ELj64ELb0E21rocsparse_complex_numIdEEEv20rocsparse_direction_iPKiS5_PT2_S5_iPiS5_S8_21rocsparse_index_base_imNS_24const_host_device_scalarIfEENSA_IdEENSA_IS6_EEb: ; @_ZN9rocsparseL15bsrilu0_generalILj128ELj64ELb0E21rocsparse_complex_numIdEEEv20rocsparse_direction_iPKiS5_PT2_S5_iPiS5_S8_21rocsparse_index_base_imNS_24const_host_device_scalarIfEENSA_IdEENSA_IS6_EEb
; %bb.0:
	s_add_u32 s6, s6, s9
	s_addc_u32 s7, s7, 0
	s_setreg_b32 hwreg(HW_REG_FLAT_SCR_LO), s6
	s_setreg_b32 hwreg(HW_REG_FLAT_SCR_HI), s7
	s_add_u32 s0, s0, s9
	s_clause 0x3
	s_load_dword s9, s[4:5], 0x78
	s_load_dwordx2 s[10:11], s[4:5], 0x48
	s_load_dwordx8 s[20:27], s[4:5], 0x50
	s_load_dwordx2 s[6:7], s[4:5], 0x70
	s_addc_u32 s1, s1, 0
	s_waitcnt lgkmcnt(0)
	s_bitcmp1_b32 s9, 0
	s_cselect_b32 s9, -1, 0
	s_cmp_eq_u32 s11, 0
	v_mov_b32_e32 v1, s27
	s_cselect_b32 s15, -1, 0
	s_cmp_lg_u32 s11, 0
	v_mov_b32_e32 v2, s26
	s_cselect_b32 s11, -1, 0
	s_or_b32 s16, s15, s9
	buffer_store_dword v1, off, s[0:3], 0 offset:36
	s_xor_b32 s14, s16, -1
	s_and_b32 s12, s15, exec_lo
	s_cselect_b32 s13, 0, s25
	s_cselect_b32 s12, 0, s24
	s_and_b32 vcc_lo, exec_lo, s16
	buffer_store_dword v2, off, s[0:3], 0 offset:32
	s_cbranch_vccnz .LBB26_2
; %bb.1:
	s_load_dword s12, s[22:23], 0x0
	s_waitcnt lgkmcnt(0)
	v_mov_b32_e32 v36, s12
	s_mov_b64 s[12:13], s[24:25]
	v_mov_b32_e32 v23, s13
	v_mov_b32_e32 v22, s12
	s_andn2_b32 vcc_lo, exec_lo, s14
	s_cbranch_vccz .LBB26_3
	s_branch .LBB26_4
.LBB26_2:
	v_cndmask_b32_e64 v36, s22, 0, s15
	v_mov_b32_e32 v23, s13
	v_mov_b32_e32 v22, s12
	s_andn2_b32 vcc_lo, exec_lo, s14
	s_cbranch_vccnz .LBB26_4
.LBB26_3:
	v_mov_b32_e32 v1, s24
	v_mov_b32_e32 v2, s25
	flat_load_dwordx2 v[22:23], v[1:2]
.LBB26_4:
	v_mov_b32_e32 v1, 0
	v_mov_b32_e32 v3, 0
	v_cndmask_b32_e64 v35, 0, 1, s11
	v_mov_b32_e32 v2, 0
	v_mov_b32_e32 v4, 0
	s_andn2_b32 vcc_lo, exec_lo, s11
	s_cbranch_vccnz .LBB26_7
; %bb.5:
	s_mov_b64 s[12:13], src_private_base
	s_xor_b32 s11, s9, -1
	s_and_b32 s9, s9, exec_lo
	s_cselect_b32 s9, 32, s26
	s_cselect_b32 s12, s13, s27
	v_mov_b32_e32 v1, s9
	v_mov_b32_e32 v2, s12
	;; [unrolled: 1-line block ×4, first 2 shown]
	s_andn2_b32 vcc_lo, exec_lo, s11
	flat_load_dwordx2 v[1:2], v[1:2]
	s_cbranch_vccnz .LBB26_7
; %bb.6:
	v_mov_b32_e32 v3, s26
	v_mov_b32_e32 v4, s27
	flat_load_dwordx2 v[3:4], v[3:4] offset:8
.LBB26_7:
	s_load_dwordx2 s[28:29], s[4:5], 0x0
	v_lshrrev_b32_e32 v5, 6, v0
	s_lshl_b32 s6, s8, 1
	s_waitcnt vmcnt(0) lgkmcnt(0)
	buffer_store_dword v2, off, s[0:3], 0 offset:4
	buffer_store_dword v1, off, s[0:3], 0
	buffer_store_dword v4, off, s[0:3], 0 offset:12
	buffer_store_dword v3, off, s[0:3], 0 offset:8
	v_and_or_b32 v5, 0x3fffffe, s6, v5
	s_mov_b32 s6, exec_lo
	v_cmpx_gt_i32_e64 s29, v5
	s_cbranch_execz .LBB26_146
; %bb.8:
	s_clause 0x1
	s_load_dwordx4 s[24:27], s[4:5], 0x30
	s_load_dwordx2 s[22:23], s[4:5], 0x40
	v_lshlrev_b32_e32 v1, 2, v5
	s_load_dwordx8 s[12:19], s[4:5], 0x8
	v_and_b32_e32 v19, 63, v0
	s_mov_b32 s6, -1
	s_mov_b32 s9, exec_lo
	s_waitcnt lgkmcnt(0)
	global_load_dword v16, v1, s[26:27]
	s_waitcnt vmcnt(0)
	v_ashrrev_i32_e32 v17, 31, v16
	v_lshlrev_b64 v[17:18], 2, v[16:17]
	v_add_co_u32 v1, vcc_lo, s18, v17
	v_add_co_ci_u32_e64 v2, null, s19, v18, vcc_lo
	global_load_dword v20, v[1:2], off
	s_waitcnt vmcnt(0)
	v_cmpx_ne_u32_e32 -1, v20
	s_cbranch_execz .LBB26_140
; %bb.9:
	v_add_co_u32 v0, vcc_lo, s12, v17
	v_add_co_ci_u32_e64 v1, null, s13, v18, vcc_lo
	s_load_dword s26, s[4:5], 0x28
	s_mov_b32 s7, 0
	s_mov_b32 s11, exec_lo
	global_load_dwordx2 v[0:1], v[0:1], off
	s_waitcnt vmcnt(0)
	v_subrev_nc_u32_e32 v24, s10, v0
	v_subrev_nc_u32_e32 v34, s10, v1
	v_cmpx_lt_i32_e64 v24, v20
	s_cbranch_execz .LBB26_75
; %bb.10:
	v_add_nc_u32_e32 v26, v24, v19
	s_waitcnt lgkmcnt(0)
	v_mad_u64_u32 v[0:1], null, s26, v24, v[19:20]
	s_cmp_gt_i32 s26, 0
	v_cmp_gt_i32_e64 s4, s26, v19
	v_ashrrev_i32_e32 v27, 31, v26
	v_cmp_le_i32_e64 s5, s26, v19
	v_cmp_lt_i32_e64 s6, v26, v34
	s_cselect_b32 s27, -1, 0
	v_mul_lo_u32 v37, s26, v0
	v_lshlrev_b64 v[1:2], 2, v[26:27]
	s_cmp_lg_u32 s28, 0
	s_mov_b32 s31, 0
	s_cselect_b32 s30, -1, 0
	s_add_i32 s29, s29, 1
	s_mul_i32 s33, s26, s26
	v_add_co_u32 v27, vcc_lo, s14, v1
	v_add_co_ci_u32_e64 v28, null, s15, v2, vcc_lo
	v_add_nc_u32_e32 v38, 1, v37
	s_add_i32 s34, s26, 1
	s_lshl_b32 s35, s26, 6
	s_add_i32 s36, s26, -1
	s_mov_b32 s37, 0
                                        ; implicit-def: $sgpr38
                                        ; implicit-def: $sgpr39
	s_branch .LBB26_13
.LBB26_11:                              ;   in Loop: Header=BB26_13 Depth=1
	s_or_b32 exec_lo, exec_lo, s8
	s_andn2_b32 s8, s39, exec_lo
	s_and_b32 s31, s31, exec_lo
	s_or_b32 s39, s8, s31
.LBB26_12:                              ;   in Loop: Header=BB26_13 Depth=1
	s_or_b32 exec_lo, exec_lo, s40
	v_add_nc_u32_e32 v24, 1, v24
	s_xor_b32 s7, s7, -1
	v_add_nc_u32_e32 v38, s33, v38
	v_add_nc_u32_e32 v37, s33, v37
	s_mov_b32 s31, s39
	v_cmp_ge_i32_e32 vcc_lo, v24, v20
	s_or_b32 s7, s7, vcc_lo
	s_and_b32 s7, exec_lo, s7
	s_or_b32 s37, s7, s37
	s_andn2_b32 s7, s38, exec_lo
	s_and_b32 s8, s39, exec_lo
	s_or_b32 s38, s7, s8
	s_andn2_b32 exec_lo, exec_lo, s37
	s_cbranch_execz .LBB26_74
.LBB26_13:                              ; =>This Loop Header: Depth=1
                                        ;     Child Loop BB26_16 Depth 2
                                        ;     Child Loop BB26_21 Depth 2
                                        ;       Child Loop BB26_26 Depth 3
                                        ;         Child Loop BB26_35 Depth 4
                                        ;     Child Loop BB26_48 Depth 2
                                        ;       Child Loop BB26_53 Depth 3
                                        ;       Child Loop BB26_60 Depth 3
                                        ;         Child Loop BB26_62 Depth 4
                                        ;           Child Loop BB26_64 Depth 5
	v_ashrrev_i32_e32 v25, 31, v24
	s_or_b32 s39, s39, exec_lo
	s_waitcnt lgkmcnt(0)
	v_lshlrev_b64 v[0:1], 2, v[24:25]
	v_add_co_u32 v0, vcc_lo, s14, v0
	v_add_co_ci_u32_e64 v1, null, s15, v1, vcc_lo
	global_load_dword v0, v[0:1], off
	s_waitcnt vmcnt(0)
	v_subrev_nc_u32_e32 v0, s10, v0
	v_ashrrev_i32_e32 v1, 31, v0
	v_lshlrev_b64 v[0:1], 2, v[0:1]
	v_add_co_u32 v2, vcc_lo, s18, v0
	v_add_co_ci_u32_e64 v3, null, s19, v1, vcc_lo
	global_load_dword v40, v[2:3], off
	s_waitcnt vmcnt(0)
	v_cmp_ne_u32_e64 s7, -1, v40
	s_and_saveexec_b32 s40, s7
	s_cbranch_execz .LBB26_12
; %bb.14:                               ;   in Loop: Header=BB26_13 Depth=1
	v_add_co_u32 v2, vcc_lo, s12, v0
	v_add_co_ci_u32_e64 v3, null, s13, v1, vcc_lo
	v_add_co_u32 v0, vcc_lo, s24, v0
	v_add_co_ci_u32_e64 v1, null, s25, v1, vcc_lo
	global_load_dword v41, v[2:3], off offset:4
	global_load_dword v2, v[0:1], off glc dlc
	s_mov_b32 s8, exec_lo
	s_waitcnt vmcnt(0)
	v_cmpx_eq_u32_e32 0, v2
	s_cbranch_execz .LBB26_17
; %bb.15:                               ;   in Loop: Header=BB26_13 Depth=1
	s_mov_b32 s41, 0
.LBB26_16:                              ;   Parent Loop BB26_13 Depth=1
                                        ; =>  This Inner Loop Header: Depth=2
	global_load_dword v2, v[0:1], off glc dlc
	s_waitcnt vmcnt(0)
	v_cmp_ne_u32_e32 vcc_lo, 0, v2
	s_or_b32 s41, vcc_lo, s41
	s_andn2_b32 exec_lo, exec_lo, s41
	s_cbranch_execnz .LBB26_16
.LBB26_17:                              ;   in Loop: Header=BB26_13 Depth=1
	s_or_b32 exec_lo, exec_lo, s8
	v_mul_lo_u32 v39, v24, s26
	s_andn2_b32 vcc_lo, exec_lo, s27
	s_waitcnt_vscnt null, 0x0
	buffer_gl1_inv
	buffer_gl0_inv
	s_cbranch_vccnz .LBB26_44
; %bb.18:                               ;   in Loop: Header=BB26_13 Depth=1
	v_mul_lo_u32 v42, v40, s26
	v_mad_u64_u32 v[29:30], null, s33, v40, 1
	v_mov_b32_e32 v21, 0
	v_mov_b32_e32 v43, v38
	s_mov_b32 s41, 0
	s_mov_b32 s42, s36
	s_branch .LBB26_21
.LBB26_19:                              ;   in Loop: Header=BB26_21 Depth=2
	s_or_b32 exec_lo, exec_lo, s44
	v_mov_b32_e32 v21, v44
.LBB26_20:                              ;   in Loop: Header=BB26_21 Depth=2
	s_or_b32 exec_lo, exec_lo, s43
	v_cmp_eq_u32_e32 vcc_lo, s26, v21
	v_add_nc_u32_e32 v29, s34, v29
	v_add_nc_u32_e32 v43, 1, v43
	s_add_i32 s42, s42, -1
	s_or_b32 s41, vcc_lo, s41
	s_andn2_b32 exec_lo, exec_lo, s41
	s_cbranch_execz .LBB26_43
.LBB26_21:                              ;   Parent Loop BB26_13 Depth=1
                                        ; =>  This Loop Header: Depth=2
                                        ;       Child Loop BB26_26 Depth 3
                                        ;         Child Loop BB26_35 Depth 4
	v_add_nc_u32_e32 v44, 1, v21
	s_and_saveexec_b32 s8, s5
	s_xor_b32 s8, exec_lo, s8
; %bb.22:                               ;   in Loop: Header=BB26_21 Depth=2
	v_add_nc_u32_e32 v21, 1, v21
                                        ; implicit-def: $vgpr44
; %bb.23:                               ;   in Loop: Header=BB26_21 Depth=2
	s_andn2_saveexec_b32 s43, s8
	s_cbranch_execz .LBB26_20
; %bb.24:                               ;   in Loop: Header=BB26_21 Depth=2
	v_add_nc_u32_e32 v0, v21, v42
	v_cmp_gt_i32_e64 s8, s26, v44
	v_mov_b32_e32 v46, v43
	v_mov_b32_e32 v25, v19
	s_mov_b32 s44, 0
	v_mad_u64_u32 v[0:1], null, v0, s26, v[21:22]
	v_ashrrev_i32_e32 v1, 31, v0
	v_lshlrev_b64 v[0:1], 4, v[0:1]
	v_add_co_u32 v0, vcc_lo, s16, v0
	v_add_co_ci_u32_e64 v1, null, s17, v1, vcc_lo
	global_load_dwordx4 v[0:3], v[0:1], off
	s_waitcnt vmcnt(0)
	v_mul_f64 v[4:5], v[2:3], v[2:3]
	v_fma_f64 v[4:5], v[0:1], v[0:1], v[4:5]
	v_div_scale_f64 v[6:7], null, v[4:5], v[4:5], 1.0
	v_rcp_f64_e32 v[8:9], v[6:7]
	v_fma_f64 v[10:11], -v[6:7], v[8:9], 1.0
	v_fma_f64 v[8:9], v[8:9], v[10:11], v[8:9]
	v_fma_f64 v[10:11], -v[6:7], v[8:9], 1.0
	v_fma_f64 v[8:9], v[8:9], v[10:11], v[8:9]
	v_div_scale_f64 v[10:11], vcc_lo, 1.0, v[4:5], 1.0
	v_mul_f64 v[12:13], v[10:11], v[8:9]
	v_fma_f64 v[6:7], -v[6:7], v[12:13], v[10:11]
	v_div_fmas_f64 v[6:7], v[6:7], v[8:9], v[12:13]
	v_div_fixup_f64 v[30:31], v[6:7], v[4:5], 1.0
	v_add_nc_u32_e32 v4, v21, v39
	v_mul_lo_u32 v45, v4, s26
	s_branch .LBB26_26
.LBB26_25:                              ;   in Loop: Header=BB26_26 Depth=3
	s_or_b32 exec_lo, exec_lo, s45
	v_add_nc_u32_e32 v25, 64, v25
	v_add_nc_u32_e32 v46, s35, v46
	v_cmp_le_i32_e32 vcc_lo, s26, v25
	s_or_b32 s44, vcc_lo, s44
	s_andn2_b32 exec_lo, exec_lo, s44
	s_cbranch_execz .LBB26_19
.LBB26_26:                              ;   Parent Loop BB26_13 Depth=1
                                        ;     Parent Loop BB26_21 Depth=2
                                        ; =>    This Loop Header: Depth=3
                                        ;         Child Loop BB26_35 Depth 4
	v_add_nc_u32_e32 v8, v25, v45
	s_and_b32 vcc_lo, exec_lo, s30
	s_cbranch_vccz .LBB26_41
; %bb.27:                               ;   in Loop: Header=BB26_26 Depth=3
	v_add_nc_u32_e32 v4, v25, v45
	v_add_nc_u32_e32 v9, v25, v39
	s_cbranch_execnz .LBB26_29
.LBB26_28:                              ;   in Loop: Header=BB26_26 Depth=3
	v_mad_u64_u32 v[4:5], null, v9, s26, v[21:22]
.LBB26_29:                              ;   in Loop: Header=BB26_26 Depth=3
	v_ashrrev_i32_e32 v5, 31, v4
	v_lshlrev_b64 v[4:5], 4, v[4:5]
	v_add_co_u32 v4, vcc_lo, s16, v4
	v_add_co_ci_u32_e64 v5, null, s17, v5, vcc_lo
	s_and_b32 vcc_lo, exec_lo, s30
	global_load_dwordx4 v[4:7], v[4:5], off
	s_cbranch_vccz .LBB26_42
; %bb.30:                               ;   in Loop: Header=BB26_26 Depth=3
	s_cbranch_execnz .LBB26_32
.LBB26_31:                              ;   in Loop: Header=BB26_26 Depth=3
	v_mad_u64_u32 v[8:9], null, v9, s26, v[21:22]
.LBB26_32:                              ;   in Loop: Header=BB26_26 Depth=3
	s_waitcnt vmcnt(0)
	v_mul_f64 v[9:10], v[2:3], v[6:7]
	v_mul_f64 v[11:12], v[2:3], -v[4:5]
	v_fma_f64 v[4:5], v[4:5], v[0:1], v[9:10]
	v_fma_f64 v[6:7], v[6:7], v[0:1], v[11:12]
	v_ashrrev_i32_e32 v9, 31, v8
	v_lshlrev_b64 v[8:9], 4, v[8:9]
	v_add_co_u32 v8, vcc_lo, s16, v8
	v_add_co_ci_u32_e64 v9, null, s17, v9, vcc_lo
	v_mul_f64 v[4:5], v[30:31], v[4:5]
	v_mul_f64 v[6:7], v[30:31], v[6:7]
	global_store_dwordx4 v[8:9], v[4:7], off
	s_and_saveexec_b32 s45, s8
	s_cbranch_execz .LBB26_25
; %bb.33:                               ;   in Loop: Header=BB26_26 Depth=3
	v_mov_b32_e32 v47, v46
	v_mov_b32_e32 v48, v29
	;; [unrolled: 1-line block ×3, first 2 shown]
	s_mov_b32 s46, s42
	s_branch .LBB26_35
.LBB26_34:                              ;   in Loop: Header=BB26_35 Depth=4
	s_waitcnt vmcnt(0)
	v_fma_f64 v[12:13], -v[4:5], v[8:9], v[12:13]
	v_fma_f64 v[14:15], -v[6:7], v[8:9], v[14:15]
	v_ashrrev_i32_e32 v33, 31, v32
	v_add_nc_u32_e32 v49, 1, v49
	v_add_nc_u32_e32 v48, 1, v48
	;; [unrolled: 1-line block ×3, first 2 shown]
	s_add_i32 s46, s46, -1
	s_cmp_eq_u32 s46, 0
	v_fma_f64 v[8:9], v[6:7], v[10:11], v[12:13]
	v_fma_f64 v[10:11], -v[4:5], v[10:11], v[14:15]
	v_lshlrev_b64 v[12:13], 4, v[32:33]
	v_add_co_u32 v12, vcc_lo, s16, v12
	v_add_co_ci_u32_e64 v13, null, s17, v13, vcc_lo
	global_store_dwordx4 v[12:13], v[8:11], off
	s_cbranch_scc1 .LBB26_25
.LBB26_35:                              ;   Parent Loop BB26_13 Depth=1
                                        ;     Parent Loop BB26_21 Depth=2
                                        ;       Parent Loop BB26_26 Depth=3
                                        ; =>      This Inner Loop Header: Depth=4
	v_mov_b32_e32 v8, v48
	s_andn2_b32 vcc_lo, exec_lo, s30
	s_cbranch_vccnz .LBB26_37
; %bb.36:                               ;   in Loop: Header=BB26_35 Depth=4
	v_add_nc_u32_e32 v8, v49, v42
	v_mad_u64_u32 v[8:9], null, v8, s26, v[21:22]
.LBB26_37:                              ;   in Loop: Header=BB26_35 Depth=4
	v_ashrrev_i32_e32 v9, 31, v8
	v_add_nc_u32_e32 v33, v49, v39
	v_mov_b32_e32 v12, v47
	v_lshlrev_b64 v[8:9], 4, v[8:9]
	v_add_co_u32 v8, vcc_lo, s16, v8
	v_add_co_ci_u32_e64 v9, null, s17, v9, vcc_lo
	s_andn2_b32 vcc_lo, exec_lo, s30
	global_load_dwordx4 v[8:11], v[8:9], off
	s_cbranch_vccnz .LBB26_39
; %bb.38:                               ;   in Loop: Header=BB26_35 Depth=4
	v_mad_u64_u32 v[12:13], null, v33, s26, v[25:26]
.LBB26_39:                              ;   in Loop: Header=BB26_35 Depth=4
	v_ashrrev_i32_e32 v13, 31, v12
	v_mov_b32_e32 v32, v47
	v_lshlrev_b64 v[12:13], 4, v[12:13]
	v_add_co_u32 v12, vcc_lo, s16, v12
	v_add_co_ci_u32_e64 v13, null, s17, v13, vcc_lo
	s_andn2_b32 vcc_lo, exec_lo, s30
	global_load_dwordx4 v[12:15], v[12:13], off
	s_cbranch_vccnz .LBB26_34
; %bb.40:                               ;   in Loop: Header=BB26_35 Depth=4
	v_mad_u64_u32 v[32:33], null, v33, s26, v[25:26]
	s_branch .LBB26_34
.LBB26_41:                              ;   in Loop: Header=BB26_26 Depth=3
                                        ; implicit-def: $vgpr4
	v_add_nc_u32_e32 v9, v25, v39
	s_branch .LBB26_28
.LBB26_42:                              ;   in Loop: Header=BB26_26 Depth=3
                                        ; implicit-def: $vgpr8
	s_branch .LBB26_31
.LBB26_43:                              ;   in Loop: Header=BB26_13 Depth=1
	s_or_b32 exec_lo, exec_lo, s41
.LBB26_44:                              ;   in Loop: Header=BB26_13 Depth=1
	v_subrev_nc_u32_e32 v12, s10, v41
	v_add_nc_u32_e32 v4, 1, v40
	s_mov_b32 s8, exec_lo
	v_cmpx_lt_i32_e64 v4, v12
	s_cbranch_execz .LBB26_11
; %bb.45:                               ;   in Loop: Header=BB26_13 Depth=1
	v_mul_lo_u32 v13, s33, v4
	s_mov_b32 s41, 0
	s_branch .LBB26_48
.LBB26_46:                              ;   in Loop: Header=BB26_48 Depth=2
	s_or_b32 exec_lo, exec_lo, s42
.LBB26_47:                              ;   in Loop: Header=BB26_48 Depth=2
	v_add_nc_u32_e32 v4, 1, v4
	v_add_nc_u32_e32 v13, s33, v13
	v_cmp_ge_i32_e32 vcc_lo, v4, v12
	s_or_b32 s41, vcc_lo, s41
	s_andn2_b32 exec_lo, exec_lo, s41
	s_cbranch_execz .LBB26_11
.LBB26_48:                              ;   Parent Loop BB26_13 Depth=1
                                        ; =>  This Loop Header: Depth=2
                                        ;       Child Loop BB26_53 Depth 3
                                        ;       Child Loop BB26_60 Depth 3
                                        ;         Child Loop BB26_62 Depth 4
                                        ;           Child Loop BB26_64 Depth 5
	v_ashrrev_i32_e32 v5, 31, v4
	s_waitcnt lgkmcnt(0)
	v_lshlrev_b64 v[0:1], 2, v[4:5]
	v_add_co_u32 v0, vcc_lo, s14, v0
	v_add_co_ci_u32_e64 v1, null, s15, v1, vcc_lo
	global_load_dword v0, v[0:1], off
	v_mov_b32_e32 v1, s29
	s_and_saveexec_b32 s42, s6
	s_cbranch_execz .LBB26_50
; %bb.49:                               ;   in Loop: Header=BB26_48 Depth=2
	global_load_dword v1, v[27:28], off
	s_waitcnt vmcnt(0)
	v_subrev_nc_u32_e32 v1, s10, v1
.LBB26_50:                              ;   in Loop: Header=BB26_48 Depth=2
	s_or_b32 exec_lo, exec_lo, s42
	s_waitcnt vmcnt(0)
	v_subrev_nc_u32_e32 v2, s10, v0
	v_mov_b32_e32 v3, v26
	s_mov_b32 s42, exec_lo
	v_cmpx_lt_i32_e64 v1, v2
	s_cbranch_execz .LBB26_56
; %bb.51:                               ;   in Loop: Header=BB26_48 Depth=2
	v_mov_b32_e32 v0, v26
	s_mov_b32 s43, 0
	s_branch .LBB26_53
	.p2align	6
.LBB26_52:                              ;   in Loop: Header=BB26_53 Depth=3
	s_or_b32 exec_lo, exec_lo, s44
	v_cmp_ge_i32_e32 vcc_lo, v1, v2
	v_mov_b32_e32 v0, v3
	s_or_b32 s43, vcc_lo, s43
	s_andn2_b32 exec_lo, exec_lo, s43
	s_cbranch_execz .LBB26_55
.LBB26_53:                              ;   Parent Loop BB26_13 Depth=1
                                        ;     Parent Loop BB26_48 Depth=2
                                        ; =>    This Inner Loop Header: Depth=3
	v_add_nc_u32_e32 v3, 64, v0
	v_mov_b32_e32 v1, s29
	s_mov_b32 s44, exec_lo
	v_cmpx_lt_i32_e64 v3, v34
	s_cbranch_execz .LBB26_52
; %bb.54:                               ;   in Loop: Header=BB26_53 Depth=3
	v_ashrrev_i32_e32 v1, 31, v0
	v_lshlrev_b64 v[0:1], 2, v[0:1]
	v_add_co_u32 v0, vcc_lo, s14, v0
	v_add_co_ci_u32_e64 v1, null, s15, v1, vcc_lo
	global_load_dword v0, v[0:1], off offset:256
	s_waitcnt vmcnt(0)
	v_subrev_nc_u32_e32 v1, s10, v0
	s_branch .LBB26_52
.LBB26_55:                              ;   in Loop: Header=BB26_48 Depth=2
	s_or_b32 exec_lo, exec_lo, s43
.LBB26_56:                              ;   in Loop: Header=BB26_48 Depth=2
	s_or_b32 exec_lo, exec_lo, s42
	v_cmp_eq_u32_e32 vcc_lo, v1, v2
	s_cbranch_vccz .LBB26_47
; %bb.57:                               ;   in Loop: Header=BB26_48 Depth=2
	s_ff1_i32_b32 s42, vcc_lo
	s_lshl_b32 s42, s42, 2
	v_mov_b32_e32 v0, s42
	ds_bpermute_b32 v0, v0, v3
	s_and_saveexec_b32 s42, s4
	s_cbranch_execz .LBB26_46
; %bb.58:                               ;   in Loop: Header=BB26_48 Depth=2
	v_mul_lo_u32 v14, v4, s26
	s_waitcnt lgkmcnt(0)
	v_mul_lo_u32 v15, v0, s26
	v_mov_b32_e32 v21, v37
	v_mov_b32_e32 v5, v19
	s_mov_b32 s43, 0
	s_branch .LBB26_60
.LBB26_59:                              ;   in Loop: Header=BB26_60 Depth=3
	v_add_nc_u32_e32 v5, 64, v5
	v_add_nc_u32_e32 v21, s35, v21
	v_cmp_le_i32_e32 vcc_lo, s26, v5
	s_or_b32 s43, vcc_lo, s43
	s_andn2_b32 exec_lo, exec_lo, s43
	s_cbranch_execz .LBB26_46
.LBB26_60:                              ;   Parent Loop BB26_13 Depth=1
                                        ;     Parent Loop BB26_48 Depth=2
                                        ; =>    This Loop Header: Depth=3
                                        ;         Child Loop BB26_62 Depth 4
                                        ;           Child Loop BB26_64 Depth 5
	v_add_nc_u32_e32 v0, v5, v15
	v_mov_b32_e32 v29, v13
	s_mov_b32 s44, 0
	v_mul_lo_u32 v25, v0, s26
	s_branch .LBB26_62
.LBB26_61:                              ;   in Loop: Header=BB26_62 Depth=4
	v_ashrrev_i32_e32 v1, 31, v0
	v_add_nc_u32_e32 v29, 1, v29
	s_add_i32 s44, s44, 1
	s_cmp_eq_u32 s44, s26
	v_lshlrev_b64 v[0:1], 4, v[0:1]
	v_add_co_u32 v10, vcc_lo, s16, v0
	v_add_co_ci_u32_e64 v11, null, s17, v1, vcc_lo
	global_load_dwordx4 v[0:3], v[10:11], off
	s_waitcnt vmcnt(0)
	v_add_f64 v[0:1], v[0:1], -v[6:7]
	v_add_f64 v[2:3], v[2:3], -v[8:9]
	global_store_dwordx4 v[10:11], v[0:3], off
	s_cbranch_scc1 .LBB26_59
.LBB26_62:                              ;   Parent Loop BB26_13 Depth=1
                                        ;     Parent Loop BB26_48 Depth=2
                                        ;       Parent Loop BB26_60 Depth=3
                                        ; =>      This Loop Header: Depth=4
                                        ;           Child Loop BB26_64 Depth 5
	v_add_nc_u32_e32 v0, s44, v14
	v_mov_b32_e32 v6, 0
	v_mov_b32_e32 v8, 0
	;; [unrolled: 1-line block ×4, first 2 shown]
	v_mul_lo_u32 v30, v0, s26
	v_mov_b32_e32 v31, v29
	s_mov_b32 s45, 0
	s_inst_prefetch 0x1
	s_branch .LBB26_64
	.p2align	6
.LBB26_63:                              ;   in Loop: Header=BB26_64 Depth=5
	v_ashrrev_i32_e32 v11, 31, v10
	v_add_nc_u32_e32 v31, s26, v31
	s_add_i32 s45, s45, 1
	s_cmp_eq_u32 s26, s45
	v_lshlrev_b64 v[10:11], 4, v[10:11]
	v_add_co_u32 v10, vcc_lo, s16, v10
	v_add_co_ci_u32_e64 v11, null, s17, v11, vcc_lo
	global_load_dwordx4 v[40:43], v[10:11], off
	s_waitcnt vmcnt(0)
	v_fma_f64 v[6:7], v[0:1], v[40:41], v[6:7]
	v_fma_f64 v[8:9], v[2:3], v[40:41], v[8:9]
	v_fma_f64 v[6:7], -v[2:3], v[42:43], v[6:7]
	v_fma_f64 v[8:9], v[0:1], v[42:43], v[8:9]
	s_cbranch_scc1 .LBB26_70
.LBB26_64:                              ;   Parent Loop BB26_13 Depth=1
                                        ;     Parent Loop BB26_48 Depth=2
                                        ;       Parent Loop BB26_60 Depth=3
                                        ;         Parent Loop BB26_62 Depth=4
                                        ; =>        This Inner Loop Header: Depth=5
	s_and_b32 vcc_lo, exec_lo, s30
	s_cbranch_vccz .LBB26_69
; %bb.65:                               ;   in Loop: Header=BB26_64 Depth=5
	v_add_nc_u32_e32 v0, s45, v39
	v_mad_u64_u32 v[0:1], null, v0, s26, v[5:6]
	s_cbranch_execnz .LBB26_67
.LBB26_66:                              ;   in Loop: Header=BB26_64 Depth=5
	v_add_nc_u32_e32 v0, s45, v21
.LBB26_67:                              ;   in Loop: Header=BB26_64 Depth=5
	v_ashrrev_i32_e32 v1, 31, v0
	v_mov_b32_e32 v10, v31
	v_lshlrev_b64 v[0:1], 4, v[0:1]
	v_add_co_u32 v0, vcc_lo, s16, v0
	v_add_co_ci_u32_e64 v1, null, s17, v1, vcc_lo
	s_andn2_b32 vcc_lo, exec_lo, s30
	global_load_dwordx4 v[0:3], v[0:1], off
	s_cbranch_vccnz .LBB26_63
; %bb.68:                               ;   in Loop: Header=BB26_64 Depth=5
	v_add_nc_u32_e32 v10, s45, v30
	s_branch .LBB26_63
.LBB26_69:                              ;   in Loop: Header=BB26_64 Depth=5
                                        ; implicit-def: $vgpr0
	s_branch .LBB26_66
.LBB26_70:                              ;   in Loop: Header=BB26_62 Depth=4
	s_inst_prefetch 0x2
	s_and_b32 vcc_lo, exec_lo, s30
	s_cbranch_vccz .LBB26_72
; %bb.71:                               ;   in Loop: Header=BB26_62 Depth=4
	v_add_nc_u32_e32 v0, s44, v15
	v_mad_u64_u32 v[0:1], null, v0, s26, v[5:6]
	s_cbranch_execnz .LBB26_61
	s_branch .LBB26_73
.LBB26_72:                              ;   in Loop: Header=BB26_62 Depth=4
                                        ; implicit-def: $vgpr0
.LBB26_73:                              ;   in Loop: Header=BB26_62 Depth=4
	v_add_nc_u32_e32 v0, s44, v25
	s_branch .LBB26_61
.LBB26_74:
	s_or_b32 exec_lo, exec_lo, s37
	s_and_b32 s7, s38, exec_lo
.LBB26_75:
	s_or_b32 exec_lo, exec_lo, s11
	v_ashrrev_i32_e32 v21, 31, v20
	s_waitcnt lgkmcnt(0)
	s_cmp_gt_i32 s26, 0
	s_mov_b32 s12, 0
	s_cselect_b32 s8, -1, 0
	v_lshlrev_b64 v[0:1], 2, v[20:21]
	v_add_co_u32 v0, vcc_lo, s14, v0
	v_add_co_ci_u32_e64 v1, null, s15, v1, vcc_lo
	global_load_dword v0, v[0:1], off
	s_waitcnt vmcnt(0)
	v_subrev_nc_u32_e32 v0, s10, v0
	v_cmp_eq_u32_e32 vcc_lo, v0, v16
	s_and_b32 s4, s8, vcc_lo
	s_and_saveexec_b32 s11, s4
	s_cbranch_execz .LBB26_115
; %bb.76:
	v_cvt_f64_f32_e32 v[0:1], v36
	v_mul_lo_u32 v31, v20, s26
	s_cmp_eq_u64 s[20:21], 8
	s_mul_i32 s5, s26, s26
	s_cselect_b32 vcc_lo, -1, 0
	s_cmp_lg_u32 s28, 0
	v_mad_u64_u32 v[12:13], null, v20, s5, 1
	s_cselect_b32 s13, -1, 0
	v_add_nc_u32_e32 v2, v31, v19
	s_add_i32 s6, s26, 1
	v_cmp_eq_u32_e64 s4, 0, v19
	v_mov_b32_e32 v21, 0
	v_mov_b32_e32 v32, 0
	v_mad_u64_u32 v[13:14], null, s26, v2, s[6:7]
	s_lshl_b32 s14, s26, 6
	s_add_i32 s15, s26, -1
	s_mov_b32 s19, s7
                                        ; implicit-def: $sgpr18
	v_cndmask_b32_e32 v15, v1, v23, vcc_lo
	v_cndmask_b32_e32 v14, v0, v22, vcc_lo
	s_branch .LBB26_78
.LBB26_77:                              ;   in Loop: Header=BB26_78 Depth=1
	s_or_b32 exec_lo, exec_lo, s5
	v_cmp_eq_u32_e32 vcc_lo, s26, v36
	s_add_i32 s15, s15, -1
	v_add_nc_u32_e32 v12, s6, v12
	v_add_nc_u32_e32 v13, s6, v13
	v_mov_b32_e32 v21, v36
	s_or_b32 s12, vcc_lo, s12
	s_andn2_b32 s5, s18, exec_lo
	s_and_b32 s18, s19, exec_lo
	s_or_b32 s18, s5, s18
	s_andn2_b32 exec_lo, exec_lo, s12
	s_cbranch_execz .LBB26_114
.LBB26_78:                              ; =>This Loop Header: Depth=1
                                        ;     Child Loop BB26_94 Depth 2
                                        ;       Child Loop BB26_103 Depth 3
	v_add_nc_u32_e32 v0, v21, v31
	s_mov_b32 s20, 0
	s_mov_b32 s21, 0
	s_mov_b32 s5, -1
	v_mul_lo_u32 v33, v0, s26
	v_add_nc_u32_e32 v0, v33, v21
	v_ashrrev_i32_e32 v1, 31, v0
	v_lshlrev_b64 v[0:1], 4, v[0:1]
	v_add_co_u32 v4, vcc_lo, s16, v0
	v_add_co_ci_u32_e64 v5, null, s17, v1, vcc_lo
	v_cmp_ne_u32_e32 vcc_lo, 1, v35
	global_load_dwordx4 v[0:3], v[4:5], off
	s_waitcnt vmcnt(0)
	buffer_store_dword v3, off, s[0:3], 0 offset:28
	buffer_store_dword v2, off, s[0:3], 0 offset:24
	;; [unrolled: 1-line block ×4, first 2 shown]
	s_cbranch_vccz .LBB26_81
; %bb.79:                               ;   in Loop: Header=BB26_78 Depth=1
	s_and_b32 vcc_lo, exec_lo, s5
	s_cbranch_vccnz .LBB26_90
.LBB26_80:                              ;   in Loop: Header=BB26_78 Depth=1
                                        ; implicit-def: $vgpr36
	s_and_saveexec_b32 s5, s21
	s_xor_b32 s21, exec_lo, s5
	s_cbranch_execnz .LBB26_91
	s_branch .LBB26_112
.LBB26_81:                              ;   in Loop: Header=BB26_78 Depth=1
	v_cmp_gt_f64_e32 vcc_lo, 0, v[0:1]
	v_xor_b32_e32 v7, 0x80000000, v1
	v_xor_b32_e32 v8, 0x80000000, v3
	v_mov_b32_e32 v6, v0
	s_mov_b32 s5, exec_lo
                                        ; implicit-def: $vgpr10_vgpr11
	v_cndmask_b32_e32 v7, v1, v7, vcc_lo
	v_cmp_gt_f64_e32 vcc_lo, 0, v[2:3]
	v_cndmask_b32_e32 v9, v3, v8, vcc_lo
	v_mov_b32_e32 v8, v2
	v_cmpx_ngt_f64_e32 v[6:7], v[8:9]
	s_xor_b32 s5, exec_lo, s5
	s_cbranch_execz .LBB26_85
; %bb.82:                               ;   in Loop: Header=BB26_78 Depth=1
	v_mov_b32_e32 v10, 0
	v_mov_b32_e32 v11, 0
	s_mov_b32 s21, exec_lo
	v_cmpx_neq_f64_e32 0, v[2:3]
	s_cbranch_execz .LBB26_84
; %bb.83:                               ;   in Loop: Header=BB26_78 Depth=1
	v_div_scale_f64 v[10:11], null, v[8:9], v[8:9], v[6:7]
	v_div_scale_f64 v[26:27], vcc_lo, v[6:7], v[8:9], v[6:7]
	v_rcp_f64_e32 v[22:23], v[10:11]
	v_fma_f64 v[24:25], -v[10:11], v[22:23], 1.0
	v_fma_f64 v[22:23], v[22:23], v[24:25], v[22:23]
	v_fma_f64 v[24:25], -v[10:11], v[22:23], 1.0
	v_fma_f64 v[22:23], v[22:23], v[24:25], v[22:23]
	v_mul_f64 v[24:25], v[26:27], v[22:23]
	v_fma_f64 v[10:11], -v[10:11], v[24:25], v[26:27]
	v_div_fmas_f64 v[10:11], v[10:11], v[22:23], v[24:25]
	v_div_fixup_f64 v[6:7], v[10:11], v[8:9], v[6:7]
	v_fma_f64 v[6:7], v[6:7], v[6:7], 1.0
	v_cmp_gt_f64_e32 vcc_lo, 0x10000000, v[6:7]
	v_cndmask_b32_e64 v10, 0, 0x100, vcc_lo
	v_ldexp_f64 v[6:7], v[6:7], v10
	v_rsq_f64_e32 v[10:11], v[6:7]
	v_mul_f64 v[22:23], v[6:7], v[10:11]
	v_mul_f64 v[10:11], v[10:11], 0.5
	v_fma_f64 v[24:25], -v[10:11], v[22:23], 0.5
	v_fma_f64 v[22:23], v[22:23], v[24:25], v[22:23]
	v_fma_f64 v[10:11], v[10:11], v[24:25], v[10:11]
	v_fma_f64 v[24:25], -v[22:23], v[22:23], v[6:7]
	v_fma_f64 v[22:23], v[24:25], v[10:11], v[22:23]
	v_fma_f64 v[24:25], -v[22:23], v[22:23], v[6:7]
	v_fma_f64 v[10:11], v[24:25], v[10:11], v[22:23]
	v_cndmask_b32_e64 v22, 0, 0xffffff80, vcc_lo
	v_cmp_class_f64_e64 vcc_lo, v[6:7], 0x260
	v_ldexp_f64 v[10:11], v[10:11], v22
	v_cndmask_b32_e32 v7, v11, v7, vcc_lo
	v_cndmask_b32_e32 v6, v10, v6, vcc_lo
	v_mul_f64 v[10:11], v[8:9], v[6:7]
.LBB26_84:                              ;   in Loop: Header=BB26_78 Depth=1
	s_or_b32 exec_lo, exec_lo, s21
                                        ; implicit-def: $vgpr6_vgpr7
                                        ; implicit-def: $vgpr8_vgpr9
.LBB26_85:                              ;   in Loop: Header=BB26_78 Depth=1
	s_andn2_saveexec_b32 s5, s5
	s_cbranch_execz .LBB26_87
; %bb.86:                               ;   in Loop: Header=BB26_78 Depth=1
	v_div_scale_f64 v[10:11], null, v[6:7], v[6:7], v[8:9]
	v_div_scale_f64 v[26:27], vcc_lo, v[8:9], v[6:7], v[8:9]
	v_rcp_f64_e32 v[22:23], v[10:11]
	v_fma_f64 v[24:25], -v[10:11], v[22:23], 1.0
	v_fma_f64 v[22:23], v[22:23], v[24:25], v[22:23]
	v_fma_f64 v[24:25], -v[10:11], v[22:23], 1.0
	v_fma_f64 v[22:23], v[22:23], v[24:25], v[22:23]
	v_mul_f64 v[24:25], v[26:27], v[22:23]
	v_fma_f64 v[10:11], -v[10:11], v[24:25], v[26:27]
	v_div_fmas_f64 v[10:11], v[10:11], v[22:23], v[24:25]
	v_div_fixup_f64 v[8:9], v[10:11], v[6:7], v[8:9]
	v_fma_f64 v[8:9], v[8:9], v[8:9], 1.0
	v_cmp_gt_f64_e32 vcc_lo, 0x10000000, v[8:9]
	v_cndmask_b32_e64 v10, 0, 0x100, vcc_lo
	v_ldexp_f64 v[8:9], v[8:9], v10
	v_rsq_f64_e32 v[10:11], v[8:9]
	v_mul_f64 v[22:23], v[8:9], v[10:11]
	v_mul_f64 v[10:11], v[10:11], 0.5
	v_fma_f64 v[24:25], -v[10:11], v[22:23], 0.5
	v_fma_f64 v[22:23], v[22:23], v[24:25], v[22:23]
	v_fma_f64 v[10:11], v[10:11], v[24:25], v[10:11]
	v_fma_f64 v[24:25], -v[22:23], v[22:23], v[8:9]
	v_fma_f64 v[22:23], v[24:25], v[10:11], v[22:23]
	v_fma_f64 v[24:25], -v[22:23], v[22:23], v[8:9]
	v_fma_f64 v[10:11], v[24:25], v[10:11], v[22:23]
	v_cndmask_b32_e64 v22, 0, 0xffffff80, vcc_lo
	v_cmp_class_f64_e64 vcc_lo, v[8:9], 0x260
	v_ldexp_f64 v[10:11], v[10:11], v22
	v_cndmask_b32_e32 v9, v11, v9, vcc_lo
	v_cndmask_b32_e32 v8, v10, v8, vcc_lo
	v_mul_f64 v[10:11], v[6:7], v[8:9]
.LBB26_87:                              ;   in Loop: Header=BB26_78 Depth=1
	s_or_b32 exec_lo, exec_lo, s5
	v_cmp_ge_f64_e32 vcc_lo, v[14:15], v[10:11]
	v_cndmask_b32_e32 v6, 16, v32, vcc_lo
	s_clause 0x3
	buffer_load_dword v7, v6, s[0:3], 0 offen
	buffer_load_dword v8, v6, s[0:3], 0 offen offset:4
	buffer_load_dword v9, v6, s[0:3], 0 offen offset:8
	buffer_load_dword v10, v6, s[0:3], 0 offen offset:12
	s_waitcnt vmcnt(3)
	buffer_store_dword v7, off, s[0:3], 0 offset:16
	s_waitcnt vmcnt(2)
	buffer_store_dword v8, off, s[0:3], 0 offset:20
	;; [unrolled: 2-line block ×4, first 2 shown]
	s_and_saveexec_b32 s5, s4
	s_cbranch_execz .LBB26_89
; %bb.88:                               ;   in Loop: Header=BB26_78 Depth=1
	s_clause 0x3
	buffer_load_dword v7, v6, s[0:3], 0 offen
	buffer_load_dword v8, v6, s[0:3], 0 offen offset:4
	buffer_load_dword v9, v6, s[0:3], 0 offen offset:8
	buffer_load_dword v10, v6, s[0:3], 0 offen offset:12
	s_waitcnt vmcnt(0)
	global_store_dwordx4 v[4:5], v[7:10], off
.LBB26_89:                              ;   in Loop: Header=BB26_78 Depth=1
	s_or_b32 exec_lo, exec_lo, s5
	s_mov_b32 s21, -1
	s_branch .LBB26_80
.LBB26_90:                              ;   in Loop: Header=BB26_78 Depth=1
	v_cmp_neq_f64_e32 vcc_lo, 0, v[0:1]
	v_cmp_neq_f64_e64 s5, 0, v[2:3]
	s_andn2_b32 s21, s21, exec_lo
	s_mov_b32 s20, -1
	s_or_b32 s5, vcc_lo, s5
	s_and_b32 s5, s5, exec_lo
	s_or_b32 s21, s21, s5
                                        ; implicit-def: $vgpr36
	s_and_saveexec_b32 s5, s21
	s_xor_b32 s21, exec_lo, s5
	s_cbranch_execz .LBB26_112
.LBB26_91:                              ;   in Loop: Header=BB26_78 Depth=1
	v_add_nc_u32_e32 v36, 1, v21
	s_mov_b32 s27, exec_lo
	v_add_nc_u32_e32 v22, v36, v19
	v_cmpx_gt_i32_e64 s26, v22
	s_cbranch_execz .LBB26_111
; %bb.92:                               ;   in Loop: Header=BB26_78 Depth=1
	s_clause 0x3
	buffer_load_dword v23, off, s[0:3], 0 offset:24
	buffer_load_dword v24, off, s[0:3], 0 offset:28
	;; [unrolled: 1-line block ×4, first 2 shown]
	v_cmp_gt_i32_e64 s5, s26, v36
	v_mov_b32_e32 v37, v13
	s_mov_b32 s29, 0
	s_waitcnt vmcnt(2)
	v_mul_f64 v[0:1], v[23:24], v[23:24]
	s_waitcnt vmcnt(0)
	v_fma_f64 v[0:1], v[25:26], v[25:26], v[0:1]
	v_div_scale_f64 v[2:3], null, v[0:1], v[0:1], 1.0
	v_rcp_f64_e32 v[4:5], v[2:3]
	v_fma_f64 v[6:7], -v[2:3], v[4:5], 1.0
	v_fma_f64 v[4:5], v[4:5], v[6:7], v[4:5]
	v_fma_f64 v[6:7], -v[2:3], v[4:5], 1.0
	v_fma_f64 v[4:5], v[4:5], v[6:7], v[4:5]
	v_div_scale_f64 v[6:7], vcc_lo, 1.0, v[0:1], 1.0
	v_mul_f64 v[8:9], v[6:7], v[4:5]
	v_fma_f64 v[2:3], -v[2:3], v[8:9], v[6:7]
	v_div_fmas_f64 v[2:3], v[2:3], v[4:5], v[8:9]
	v_div_fixup_f64 v[27:28], v[2:3], v[0:1], 1.0
	s_branch .LBB26_94
.LBB26_93:                              ;   in Loop: Header=BB26_94 Depth=2
	s_or_b32 exec_lo, exec_lo, s30
	v_add_nc_u32_e32 v22, 64, v22
	v_add_nc_u32_e32 v37, s14, v37
	v_cmp_le_i32_e32 vcc_lo, s26, v22
	s_or_b32 s29, vcc_lo, s29
	s_andn2_b32 exec_lo, exec_lo, s29
	s_cbranch_execz .LBB26_111
.LBB26_94:                              ;   Parent Loop BB26_78 Depth=1
                                        ; =>  This Loop Header: Depth=2
                                        ;       Child Loop BB26_103 Depth 3
	v_add_nc_u32_e32 v4, v22, v33
	s_and_b32 vcc_lo, exec_lo, s13
	s_cbranch_vccz .LBB26_109
; %bb.95:                               ;   in Loop: Header=BB26_94 Depth=2
	v_add_nc_u32_e32 v0, v22, v33
	s_cbranch_execnz .LBB26_97
.LBB26_96:                              ;   in Loop: Header=BB26_94 Depth=2
	v_add_nc_u32_e32 v0, v22, v31
	v_mad_u64_u32 v[0:1], null, v0, s26, v[21:22]
.LBB26_97:                              ;   in Loop: Header=BB26_94 Depth=2
	v_ashrrev_i32_e32 v1, 31, v0
	v_lshlrev_b64 v[0:1], 4, v[0:1]
	v_add_co_u32 v0, vcc_lo, s16, v0
	v_add_co_ci_u32_e64 v1, null, s17, v1, vcc_lo
	s_and_b32 vcc_lo, exec_lo, s13
	global_load_dwordx4 v[0:3], v[0:1], off
	s_cbranch_vccz .LBB26_110
; %bb.98:                               ;   in Loop: Header=BB26_94 Depth=2
	s_cbranch_execnz .LBB26_100
.LBB26_99:                              ;   in Loop: Header=BB26_94 Depth=2
	v_add_nc_u32_e32 v4, v22, v31
	v_mad_u64_u32 v[4:5], null, v4, s26, v[21:22]
.LBB26_100:                             ;   in Loop: Header=BB26_94 Depth=2
	s_waitcnt vmcnt(0)
	v_mul_f64 v[5:6], v[23:24], v[2:3]
	v_mul_f64 v[7:8], v[23:24], -v[0:1]
	v_fma_f64 v[0:1], v[0:1], v[25:26], v[5:6]
	v_fma_f64 v[2:3], v[2:3], v[25:26], v[7:8]
	v_ashrrev_i32_e32 v5, 31, v4
	v_lshlrev_b64 v[4:5], 4, v[4:5]
	v_add_co_u32 v4, vcc_lo, s16, v4
	v_add_co_ci_u32_e64 v5, null, s17, v5, vcc_lo
	v_mul_f64 v[0:1], v[27:28], v[0:1]
	v_mul_f64 v[2:3], v[27:28], v[2:3]
	global_store_dwordx4 v[4:5], v[0:3], off
	s_and_saveexec_b32 s30, s5
	s_cbranch_execz .LBB26_93
; %bb.101:                              ;   in Loop: Header=BB26_94 Depth=2
	v_mov_b32_e32 v38, v37
	v_mov_b32_e32 v39, v12
	;; [unrolled: 1-line block ×3, first 2 shown]
	s_mov_b32 s31, s15
	s_branch .LBB26_103
.LBB26_102:                             ;   in Loop: Header=BB26_103 Depth=3
	s_waitcnt vmcnt(0)
	v_fma_f64 v[8:9], -v[0:1], v[4:5], v[8:9]
	v_fma_f64 v[10:11], -v[2:3], v[4:5], v[10:11]
	v_ashrrev_i32_e32 v30, 31, v29
	v_add_nc_u32_e32 v40, 1, v40
	v_add_nc_u32_e32 v39, 1, v39
	;; [unrolled: 1-line block ×3, first 2 shown]
	s_add_i32 s31, s31, -1
	s_cmp_eq_u32 s31, 0
	v_fma_f64 v[4:5], v[2:3], v[6:7], v[8:9]
	v_fma_f64 v[6:7], -v[0:1], v[6:7], v[10:11]
	v_lshlrev_b64 v[8:9], 4, v[29:30]
	v_add_co_u32 v8, vcc_lo, s16, v8
	v_add_co_ci_u32_e64 v9, null, s17, v9, vcc_lo
	global_store_dwordx4 v[8:9], v[4:7], off
	s_cbranch_scc1 .LBB26_93
.LBB26_103:                             ;   Parent Loop BB26_78 Depth=1
                                        ;     Parent Loop BB26_94 Depth=2
                                        ; =>    This Inner Loop Header: Depth=3
	v_add_nc_u32_e32 v30, v40, v31
	v_mov_b32_e32 v4, v39
	s_andn2_b32 vcc_lo, exec_lo, s13
	s_cbranch_vccnz .LBB26_105
; %bb.104:                              ;   in Loop: Header=BB26_103 Depth=3
	v_mad_u64_u32 v[4:5], null, v30, s26, v[21:22]
.LBB26_105:                             ;   in Loop: Header=BB26_103 Depth=3
	v_ashrrev_i32_e32 v5, 31, v4
	v_mov_b32_e32 v8, v38
	v_lshlrev_b64 v[4:5], 4, v[4:5]
	v_add_co_u32 v4, vcc_lo, s16, v4
	v_add_co_ci_u32_e64 v5, null, s17, v5, vcc_lo
	s_andn2_b32 vcc_lo, exec_lo, s13
	global_load_dwordx4 v[4:7], v[4:5], off
	s_cbranch_vccnz .LBB26_107
; %bb.106:                              ;   in Loop: Header=BB26_103 Depth=3
	v_mad_u64_u32 v[8:9], null, v30, s26, v[22:23]
.LBB26_107:                             ;   in Loop: Header=BB26_103 Depth=3
	v_ashrrev_i32_e32 v9, 31, v8
	v_mov_b32_e32 v29, v38
	v_lshlrev_b64 v[8:9], 4, v[8:9]
	v_add_co_u32 v8, vcc_lo, s16, v8
	v_add_co_ci_u32_e64 v9, null, s17, v9, vcc_lo
	s_andn2_b32 vcc_lo, exec_lo, s13
	global_load_dwordx4 v[8:11], v[8:9], off
	s_cbranch_vccnz .LBB26_102
; %bb.108:                              ;   in Loop: Header=BB26_103 Depth=3
	v_mad_u64_u32 v[29:30], null, v30, s26, v[22:23]
	s_branch .LBB26_102
.LBB26_109:                             ;   in Loop: Header=BB26_94 Depth=2
                                        ; implicit-def: $vgpr0
	s_branch .LBB26_96
.LBB26_110:                             ;   in Loop: Header=BB26_94 Depth=2
                                        ; implicit-def: $vgpr4
	s_branch .LBB26_99
.LBB26_111:                             ;   in Loop: Header=BB26_78 Depth=1
	s_or_b32 exec_lo, exec_lo, s27
	s_andn2_b32 s20, s20, exec_lo
.LBB26_112:                             ;   in Loop: Header=BB26_78 Depth=1
	s_or_b32 exec_lo, exec_lo, s21
	s_andn2_b32 s5, s19, exec_lo
	s_and_b32 s19, s19, exec_lo
	s_or_b32 s19, s5, s19
	s_and_saveexec_b32 s5, s20
	s_cbranch_execz .LBB26_77
; %bb.113:                              ;   in Loop: Header=BB26_78 Depth=1
	v_add_nc_u32_e32 v36, 1, v21
	s_or_b32 s19, s19, exec_lo
	s_branch .LBB26_77
.LBB26_114:
	s_or_b32 exec_lo, exec_lo, s12
	s_andn2_b32 s4, s7, exec_lo
	s_and_b32 s5, s18, exec_lo
	s_or_b32 s7, s4, s5
.LBB26_115:
	s_or_b32 exec_lo, exec_lo, s11
	v_add_nc_u32_e32 v15, 1, v20
	s_mov_b32 s5, exec_lo
	v_cmpx_lt_i32_e64 v15, v34
	s_cbranch_execz .LBB26_139
; %bb.116:
	v_mul_lo_u32 v20, v20, s26
	s_mul_i32 s6, s26, s26
	v_cmp_gt_i32_e64 s4, s26, v19
	v_mul_lo_u32 v0, s6, v15
	s_cmp_lg_u32 s28, 0
	s_mov_b32 s11, 0
	s_cselect_b32 s12, -1, 0
	s_add_i32 s13, s26, 1
	v_mad_u64_u32 v[12:13], null, s26, v20, s[26:27]
	s_add_i32 s14, s26, -1
	v_add3_u32 v21, v0, s26, v19
	s_branch .LBB26_118
.LBB26_117:                             ;   in Loop: Header=BB26_118 Depth=1
	v_add_nc_u32_e32 v15, 1, v15
	v_add_nc_u32_e32 v21, s6, v21
	v_cmp_ge_i32_e32 vcc_lo, v15, v34
	s_or_b32 s11, vcc_lo, s11
	s_andn2_b32 exec_lo, exec_lo, s11
	s_cbranch_execz .LBB26_139
.LBB26_118:                             ; =>This Loop Header: Depth=1
                                        ;     Child Loop BB26_121 Depth 2
                                        ;       Child Loop BB26_124 Depth 3
                                        ;         Child Loop BB26_127 Depth 4
	s_andn2_b32 vcc_lo, exec_lo, s8
	s_cbranch_vccnz .LBB26_117
; %bb.119:                              ;   in Loop: Header=BB26_118 Depth=1
	v_mul_lo_u32 v22, v15, s26
	v_mov_b32_e32 v23, v21
	v_mov_b32_e32 v24, v12
	s_mov_b32 s18, 0
	s_mov_b32 s15, s14
	s_branch .LBB26_121
.LBB26_120:                             ;   in Loop: Header=BB26_121 Depth=2
	s_or_b32 exec_lo, exec_lo, s20
	v_add_nc_u32_e32 v24, s13, v24
	v_add_nc_u32_e32 v23, s26, v23
	s_add_i32 s15, s15, -1
	s_cmp_eq_u32 s19, s26
	s_mov_b32 s18, s19
	s_cbranch_scc1 .LBB26_117
.LBB26_121:                             ;   Parent Loop BB26_118 Depth=1
                                        ; =>  This Loop Header: Depth=2
                                        ;       Child Loop BB26_124 Depth 3
                                        ;         Child Loop BB26_127 Depth 4
	s_add_i32 s19, s18, 1
	s_and_saveexec_b32 s20, s4
	s_cbranch_execz .LBB26_120
; %bb.122:                              ;   in Loop: Header=BB26_121 Depth=2
	v_add_nc_u32_e32 v0, s18, v20
	v_add_nc_u32_e32 v1, s18, v22
	v_mov_b32_e32 v27, v23
	v_mov_b32_e32 v28, v19
	s_cmp_lt_i32 s19, s26
	v_mul_lo_u32 v25, v0, s26
	v_mul_lo_u32 v26, v1, s26
	s_cselect_b32 s21, -1, 0
	s_mov_b32 s27, 0
	s_branch .LBB26_124
.LBB26_123:                             ;   in Loop: Header=BB26_124 Depth=3
	v_add_nc_u32_e32 v28, 64, v28
	v_add_nc_u32_e32 v27, 64, v27
	v_cmp_le_i32_e32 vcc_lo, s26, v28
	s_or_b32 s27, vcc_lo, s27
	s_andn2_b32 exec_lo, exec_lo, s27
	s_cbranch_execz .LBB26_120
.LBB26_124:                             ;   Parent Loop BB26_118 Depth=1
                                        ;     Parent Loop BB26_121 Depth=2
                                        ; =>    This Loop Header: Depth=3
                                        ;         Child Loop BB26_127 Depth 4
	s_andn2_b32 vcc_lo, exec_lo, s21
	s_cbranch_vccnz .LBB26_123
; %bb.125:                              ;   in Loop: Header=BB26_124 Depth=3
	v_add_nc_u32_e32 v0, v28, v22
	v_add_nc_u32_e32 v31, v28, v26
	s_mov_b32 s28, 0
	s_mov_b32 s29, s15
	;; [unrolled: 1-line block ×3, first 2 shown]
	v_mul_lo_u32 v29, v0, s26
	v_add_nc_u32_e32 v30, s18, v29
	s_branch .LBB26_127
.LBB26_126:                             ;   in Loop: Header=BB26_127 Depth=4
	s_waitcnt vmcnt(0)
	v_fma_f64 v[8:9], -v[0:1], v[4:5], v[8:9]
	v_fma_f64 v[4:5], -v[2:3], v[4:5], v[10:11]
	v_ashrrev_i32_e32 v14, 31, v13
	s_add_i32 s29, s29, -1
	s_add_i32 s30, s30, 1
	s_add_i32 s28, s28, s26
	s_cmp_eq_u32 s29, 0
	v_fma_f64 v[2:3], v[2:3], v[6:7], v[8:9]
	v_fma_f64 v[4:5], -v[0:1], v[6:7], v[4:5]
	v_lshlrev_b64 v[0:1], 4, v[13:14]
	v_add_co_u32 v0, vcc_lo, s16, v0
	v_add_co_ci_u32_e64 v1, null, s17, v1, vcc_lo
	global_store_dwordx4 v[0:1], v[2:5], off
	s_cbranch_scc1 .LBB26_123
.LBB26_127:                             ;   Parent Loop BB26_118 Depth=1
                                        ;     Parent Loop BB26_121 Depth=2
                                        ;       Parent Loop BB26_124 Depth=3
                                        ; =>      This Inner Loop Header: Depth=4
	s_and_b32 vcc_lo, exec_lo, s12
	s_cbranch_vccz .LBB26_135
; %bb.128:                              ;   in Loop: Header=BB26_127 Depth=4
	v_add_nc_u32_e32 v0, s30, v25
	v_mov_b32_e32 v2, v30
	s_cbranch_execnz .LBB26_130
.LBB26_129:                             ;   in Loop: Header=BB26_127 Depth=4
	v_add_nc_u32_e32 v0, s28, v24
	v_mov_b32_e32 v2, v31
.LBB26_130:                             ;   in Loop: Header=BB26_127 Depth=4
	v_ashrrev_i32_e32 v1, 31, v0
	v_ashrrev_i32_e32 v3, 31, v2
	v_add_nc_u32_e32 v13, s30, v29
	v_lshlrev_b64 v[0:1], 4, v[0:1]
	v_lshlrev_b64 v[2:3], 4, v[2:3]
	v_add_co_u32 v0, vcc_lo, s16, v0
	v_add_co_ci_u32_e64 v1, null, s17, v1, vcc_lo
	v_add_co_u32 v4, vcc_lo, s16, v2
	v_add_co_ci_u32_e64 v5, null, s17, v3, vcc_lo
	s_clause 0x1
	global_load_dwordx4 v[0:3], v[0:1], off
	global_load_dwordx4 v[4:7], v[4:5], off
	s_and_b32 vcc_lo, exec_lo, s12
	s_cbranch_vccz .LBB26_136
; %bb.131:                              ;   in Loop: Header=BB26_127 Depth=4
	v_add_nc_u32_e32 v8, s30, v29
	v_add_nc_u32_e32 v14, s28, v27
	s_cbranch_execnz .LBB26_133
.LBB26_132:                             ;   in Loop: Header=BB26_127 Depth=4
	v_add_nc_u32_e32 v8, s28, v27
.LBB26_133:                             ;   in Loop: Header=BB26_127 Depth=4
	v_ashrrev_i32_e32 v9, 31, v8
	v_lshlrev_b64 v[8:9], 4, v[8:9]
	v_add_co_u32 v8, vcc_lo, s16, v8
	v_add_co_ci_u32_e64 v9, null, s17, v9, vcc_lo
	s_and_b32 vcc_lo, exec_lo, s12
	global_load_dwordx4 v[8:11], v[8:9], off
	s_cbranch_vccz .LBB26_137
; %bb.134:                              ;   in Loop: Header=BB26_127 Depth=4
	s_cbranch_execnz .LBB26_126
	s_branch .LBB26_138
.LBB26_135:                             ;   in Loop: Header=BB26_127 Depth=4
                                        ; implicit-def: $vgpr0
	v_mov_b32_e32 v2, v30
	s_branch .LBB26_129
.LBB26_136:                             ;   in Loop: Header=BB26_127 Depth=4
                                        ; implicit-def: $vgpr8
	v_add_nc_u32_e32 v14, s28, v27
	s_branch .LBB26_132
.LBB26_137:                             ;   in Loop: Header=BB26_127 Depth=4
                                        ; implicit-def: $vgpr13
.LBB26_138:                             ;   in Loop: Header=BB26_127 Depth=4
	v_mov_b32_e32 v13, v14
	s_branch .LBB26_126
.LBB26_139:
	s_or_b32 exec_lo, exec_lo, s5
	s_orn2_b32 s6, s7, exec_lo
.LBB26_140:
	s_or_b32 exec_lo, exec_lo, s9
	v_cmp_eq_u32_e32 vcc_lo, 0, v19
	s_and_b32 exec_lo, exec_lo, vcc_lo
	s_cbranch_execz .LBB26_146
; %bb.141:
	v_add_co_u32 v0, vcc_lo, s24, v17
	v_add_co_ci_u32_e64 v1, null, s25, v18, vcc_lo
	v_mov_b32_e32 v2, 1
	s_waitcnt_vscnt null, 0x0
	global_store_dword v[0:1], v2, off
	s_and_b32 exec_lo, exec_lo, s6
	s_cbranch_execz .LBB26_146
; %bb.142:
	v_add_nc_u32_e32 v0, s10, v16
	s_mov_b32 s5, exec_lo
	s_brev_b32 s4, -2
.LBB26_143:                             ; =>This Inner Loop Header: Depth=1
	s_ff1_i32_b32 s6, s5
	v_readlane_b32 s7, v0, s6
	s_lshl_b32 s6, 1, s6
	s_andn2_b32 s5, s5, s6
	s_min_i32 s4, s4, s7
	s_cmp_lg_u32 s5, 0
	s_cbranch_scc1 .LBB26_143
; %bb.144:
	v_mbcnt_lo_u32_b32 v0, exec_lo, 0
	s_mov_b32 s5, exec_lo
	v_cmpx_eq_u32_e32 0, v0
	s_xor_b32 s5, exec_lo, s5
	s_cbranch_execz .LBB26_146
; %bb.145:
	v_mov_b32_e32 v0, 0
	v_mov_b32_e32 v1, s4
	global_atomic_smin v0, v1, s[22:23]
.LBB26_146:
	s_endpgm
	.section	.rodata,"a",@progbits
	.p2align	6, 0x0
	.amdhsa_kernel _ZN9rocsparseL15bsrilu0_generalILj128ELj64ELb0E21rocsparse_complex_numIdEEEv20rocsparse_direction_iPKiS5_PT2_S5_iPiS5_S8_21rocsparse_index_base_imNS_24const_host_device_scalarIfEENSA_IdEENSA_IS6_EEb
		.amdhsa_group_segment_fixed_size 0
		.amdhsa_private_segment_fixed_size 48
		.amdhsa_kernarg_size 124
		.amdhsa_user_sgpr_count 8
		.amdhsa_user_sgpr_private_segment_buffer 1
		.amdhsa_user_sgpr_dispatch_ptr 0
		.amdhsa_user_sgpr_queue_ptr 0
		.amdhsa_user_sgpr_kernarg_segment_ptr 1
		.amdhsa_user_sgpr_dispatch_id 0
		.amdhsa_user_sgpr_flat_scratch_init 1
		.amdhsa_user_sgpr_private_segment_size 0
		.amdhsa_wavefront_size32 1
		.amdhsa_uses_dynamic_stack 0
		.amdhsa_system_sgpr_private_segment_wavefront_offset 1
		.amdhsa_system_sgpr_workgroup_id_x 1
		.amdhsa_system_sgpr_workgroup_id_y 0
		.amdhsa_system_sgpr_workgroup_id_z 0
		.amdhsa_system_sgpr_workgroup_info 0
		.amdhsa_system_vgpr_workitem_id 0
		.amdhsa_next_free_vgpr 50
		.amdhsa_next_free_sgpr 47
		.amdhsa_reserve_vcc 1
		.amdhsa_reserve_flat_scratch 1
		.amdhsa_float_round_mode_32 0
		.amdhsa_float_round_mode_16_64 0
		.amdhsa_float_denorm_mode_32 3
		.amdhsa_float_denorm_mode_16_64 3
		.amdhsa_dx10_clamp 1
		.amdhsa_ieee_mode 1
		.amdhsa_fp16_overflow 0
		.amdhsa_workgroup_processor_mode 1
		.amdhsa_memory_ordered 1
		.amdhsa_forward_progress 1
		.amdhsa_shared_vgpr_count 0
		.amdhsa_exception_fp_ieee_invalid_op 0
		.amdhsa_exception_fp_denorm_src 0
		.amdhsa_exception_fp_ieee_div_zero 0
		.amdhsa_exception_fp_ieee_overflow 0
		.amdhsa_exception_fp_ieee_underflow 0
		.amdhsa_exception_fp_ieee_inexact 0
		.amdhsa_exception_int_div_zero 0
	.end_amdhsa_kernel
	.section	.text._ZN9rocsparseL15bsrilu0_generalILj128ELj64ELb0E21rocsparse_complex_numIdEEEv20rocsparse_direction_iPKiS5_PT2_S5_iPiS5_S8_21rocsparse_index_base_imNS_24const_host_device_scalarIfEENSA_IdEENSA_IS6_EEb,"axG",@progbits,_ZN9rocsparseL15bsrilu0_generalILj128ELj64ELb0E21rocsparse_complex_numIdEEEv20rocsparse_direction_iPKiS5_PT2_S5_iPiS5_S8_21rocsparse_index_base_imNS_24const_host_device_scalarIfEENSA_IdEENSA_IS6_EEb,comdat
.Lfunc_end26:
	.size	_ZN9rocsparseL15bsrilu0_generalILj128ELj64ELb0E21rocsparse_complex_numIdEEEv20rocsparse_direction_iPKiS5_PT2_S5_iPiS5_S8_21rocsparse_index_base_imNS_24const_host_device_scalarIfEENSA_IdEENSA_IS6_EEb, .Lfunc_end26-_ZN9rocsparseL15bsrilu0_generalILj128ELj64ELb0E21rocsparse_complex_numIdEEEv20rocsparse_direction_iPKiS5_PT2_S5_iPiS5_S8_21rocsparse_index_base_imNS_24const_host_device_scalarIfEENSA_IdEENSA_IS6_EEb
                                        ; -- End function
	.set _ZN9rocsparseL15bsrilu0_generalILj128ELj64ELb0E21rocsparse_complex_numIdEEEv20rocsparse_direction_iPKiS5_PT2_S5_iPiS5_S8_21rocsparse_index_base_imNS_24const_host_device_scalarIfEENSA_IdEENSA_IS6_EEb.num_vgpr, 50
	.set _ZN9rocsparseL15bsrilu0_generalILj128ELj64ELb0E21rocsparse_complex_numIdEEEv20rocsparse_direction_iPKiS5_PT2_S5_iPiS5_S8_21rocsparse_index_base_imNS_24const_host_device_scalarIfEENSA_IdEENSA_IS6_EEb.num_agpr, 0
	.set _ZN9rocsparseL15bsrilu0_generalILj128ELj64ELb0E21rocsparse_complex_numIdEEEv20rocsparse_direction_iPKiS5_PT2_S5_iPiS5_S8_21rocsparse_index_base_imNS_24const_host_device_scalarIfEENSA_IdEENSA_IS6_EEb.numbered_sgpr, 47
	.set _ZN9rocsparseL15bsrilu0_generalILj128ELj64ELb0E21rocsparse_complex_numIdEEEv20rocsparse_direction_iPKiS5_PT2_S5_iPiS5_S8_21rocsparse_index_base_imNS_24const_host_device_scalarIfEENSA_IdEENSA_IS6_EEb.num_named_barrier, 0
	.set _ZN9rocsparseL15bsrilu0_generalILj128ELj64ELb0E21rocsparse_complex_numIdEEEv20rocsparse_direction_iPKiS5_PT2_S5_iPiS5_S8_21rocsparse_index_base_imNS_24const_host_device_scalarIfEENSA_IdEENSA_IS6_EEb.private_seg_size, 48
	.set _ZN9rocsparseL15bsrilu0_generalILj128ELj64ELb0E21rocsparse_complex_numIdEEEv20rocsparse_direction_iPKiS5_PT2_S5_iPiS5_S8_21rocsparse_index_base_imNS_24const_host_device_scalarIfEENSA_IdEENSA_IS6_EEb.uses_vcc, 1
	.set _ZN9rocsparseL15bsrilu0_generalILj128ELj64ELb0E21rocsparse_complex_numIdEEEv20rocsparse_direction_iPKiS5_PT2_S5_iPiS5_S8_21rocsparse_index_base_imNS_24const_host_device_scalarIfEENSA_IdEENSA_IS6_EEb.uses_flat_scratch, 1
	.set _ZN9rocsparseL15bsrilu0_generalILj128ELj64ELb0E21rocsparse_complex_numIdEEEv20rocsparse_direction_iPKiS5_PT2_S5_iPiS5_S8_21rocsparse_index_base_imNS_24const_host_device_scalarIfEENSA_IdEENSA_IS6_EEb.has_dyn_sized_stack, 0
	.set _ZN9rocsparseL15bsrilu0_generalILj128ELj64ELb0E21rocsparse_complex_numIdEEEv20rocsparse_direction_iPKiS5_PT2_S5_iPiS5_S8_21rocsparse_index_base_imNS_24const_host_device_scalarIfEENSA_IdEENSA_IS6_EEb.has_recursion, 0
	.set _ZN9rocsparseL15bsrilu0_generalILj128ELj64ELb0E21rocsparse_complex_numIdEEEv20rocsparse_direction_iPKiS5_PT2_S5_iPiS5_S8_21rocsparse_index_base_imNS_24const_host_device_scalarIfEENSA_IdEENSA_IS6_EEb.has_indirect_call, 0
	.section	.AMDGPU.csdata,"",@progbits
; Kernel info:
; codeLenInByte = 5220
; TotalNumSgprs: 49
; NumVgprs: 50
; ScratchSize: 48
; MemoryBound: 0
; FloatMode: 240
; IeeeMode: 1
; LDSByteSize: 0 bytes/workgroup (compile time only)
; SGPRBlocks: 0
; VGPRBlocks: 6
; NumSGPRsForWavesPerEU: 49
; NumVGPRsForWavesPerEU: 50
; Occupancy: 16
; WaveLimiterHint : 1
; COMPUTE_PGM_RSRC2:SCRATCH_EN: 1
; COMPUTE_PGM_RSRC2:USER_SGPR: 8
; COMPUTE_PGM_RSRC2:TRAP_HANDLER: 0
; COMPUTE_PGM_RSRC2:TGID_X_EN: 1
; COMPUTE_PGM_RSRC2:TGID_Y_EN: 0
; COMPUTE_PGM_RSRC2:TGID_Z_EN: 0
; COMPUTE_PGM_RSRC2:TIDIG_COMP_CNT: 0
	.section	.AMDGPU.gpr_maximums,"",@progbits
	.set amdgpu.max_num_vgpr, 0
	.set amdgpu.max_num_agpr, 0
	.set amdgpu.max_num_sgpr, 0
	.section	.AMDGPU.csdata,"",@progbits
	.type	__hip_cuid_1868ee3bc90f2eb5,@object ; @__hip_cuid_1868ee3bc90f2eb5
	.section	.bss,"aw",@nobits
	.globl	__hip_cuid_1868ee3bc90f2eb5
__hip_cuid_1868ee3bc90f2eb5:
	.byte	0                               ; 0x0
	.size	__hip_cuid_1868ee3bc90f2eb5, 1

	.ident	"AMD clang version 22.0.0git (https://github.com/RadeonOpenCompute/llvm-project roc-7.2.4 26084 f58b06dce1f9c15707c5f808fd002e18c2accf7e)"
	.section	".note.GNU-stack","",@progbits
	.addrsig
	.addrsig_sym __hip_cuid_1868ee3bc90f2eb5
	.amdgpu_metadata
---
amdhsa.kernels:
  - .args:
      - .offset:         0
        .size:           4
        .value_kind:     by_value
      - .offset:         4
        .size:           4
        .value_kind:     by_value
      - .address_space:  global
        .offset:         8
        .size:           8
        .value_kind:     global_buffer
      - .address_space:  global
        .offset:         16
        .size:           8
        .value_kind:     global_buffer
      - .address_space:  global
        .offset:         24
        .size:           8
        .value_kind:     global_buffer
      - .address_space:  global
        .offset:         32
        .size:           8
        .value_kind:     global_buffer
      - .offset:         40
        .size:           4
        .value_kind:     by_value
      - .address_space:  global
        .offset:         48
        .size:           8
        .value_kind:     global_buffer
      - .address_space:  global
        .offset:         56
        .size:           8
        .value_kind:     global_buffer
      - .address_space:  global
        .offset:         64
        .size:           8
        .value_kind:     global_buffer
      - .offset:         72
        .size:           4
        .value_kind:     by_value
      - .offset:         76
        .size:           4
        .value_kind:     by_value
      - .offset:         80
        .size:           8
        .value_kind:     by_value
      - .offset:         88
        .size:           8
        .value_kind:     by_value
      - .offset:         96
        .size:           8
        .value_kind:     by_value
      - .offset:         104
        .size:           8
        .value_kind:     by_value
      - .offset:         112
        .size:           1
        .value_kind:     by_value
    .group_segment_fixed_size: 0
    .kernarg_segment_align: 8
    .kernarg_segment_size: 116
    .language:       OpenCL C
    .language_version:
      - 2
      - 0
    .max_flat_workgroup_size: 128
    .name:           _ZN9rocsparseL15bsrilu0_generalILj128ELj64ELb1EfEEv20rocsparse_direction_iPKiS3_PT2_S3_iPiS3_S6_21rocsparse_index_base_imNS_24const_host_device_scalarIfEENS8_IdEENS8_IS4_EEb
    .private_segment_fixed_size: 0
    .sgpr_count:     46
    .sgpr_spill_count: 0
    .symbol:         _ZN9rocsparseL15bsrilu0_generalILj128ELj64ELb1EfEEv20rocsparse_direction_iPKiS3_PT2_S3_iPiS3_S6_21rocsparse_index_base_imNS_24const_host_device_scalarIfEENS8_IdEENS8_IS4_EEb.kd
    .uniform_work_group_size: 1
    .uses_dynamic_stack: false
    .vgpr_count:     37
    .vgpr_spill_count: 0
    .wavefront_size: 32
    .workgroup_processor_mode: 1
  - .args:
      - .offset:         0
        .size:           4
        .value_kind:     by_value
      - .offset:         4
        .size:           4
        .value_kind:     by_value
      - .address_space:  global
        .offset:         8
        .size:           8
        .value_kind:     global_buffer
      - .address_space:  global
        .offset:         16
        .size:           8
        .value_kind:     global_buffer
      - .address_space:  global
        .offset:         24
        .size:           8
        .value_kind:     global_buffer
      - .address_space:  global
        .offset:         32
        .size:           8
        .value_kind:     global_buffer
      - .offset:         40
        .size:           4
        .value_kind:     by_value
      - .address_space:  global
        .offset:         48
        .size:           8
        .value_kind:     global_buffer
      - .address_space:  global
        .offset:         56
        .size:           8
        .value_kind:     global_buffer
      - .address_space:  global
        .offset:         64
        .size:           8
        .value_kind:     global_buffer
      - .offset:         72
        .size:           4
        .value_kind:     by_value
      - .offset:         76
        .size:           4
        .value_kind:     by_value
      - .offset:         80
        .size:           8
        .value_kind:     by_value
      - .offset:         88
        .size:           8
        .value_kind:     by_value
      - .offset:         96
        .size:           8
        .value_kind:     by_value
      - .offset:         104
        .size:           8
        .value_kind:     by_value
      - .offset:         112
        .size:           1
        .value_kind:     by_value
    .group_segment_fixed_size: 0
    .kernarg_segment_align: 8
    .kernarg_segment_size: 116
    .language:       OpenCL C
    .language_version:
      - 2
      - 0
    .max_flat_workgroup_size: 128
    .name:           _ZN9rocsparseL15bsrilu0_generalILj128ELj32ELb0EfEEv20rocsparse_direction_iPKiS3_PT2_S3_iPiS3_S6_21rocsparse_index_base_imNS_24const_host_device_scalarIfEENS8_IdEENS8_IS4_EEb
    .private_segment_fixed_size: 0
    .sgpr_count:     46
    .sgpr_spill_count: 0
    .symbol:         _ZN9rocsparseL15bsrilu0_generalILj128ELj32ELb0EfEEv20rocsparse_direction_iPKiS3_PT2_S3_iPiS3_S6_21rocsparse_index_base_imNS_24const_host_device_scalarIfEENS8_IdEENS8_IS4_EEb.kd
    .uniform_work_group_size: 1
    .uses_dynamic_stack: false
    .vgpr_count:     37
    .vgpr_spill_count: 0
    .wavefront_size: 32
    .workgroup_processor_mode: 1
  - .args:
      - .offset:         0
        .size:           4
        .value_kind:     by_value
      - .offset:         4
        .size:           4
        .value_kind:     by_value
      - .address_space:  global
        .offset:         8
        .size:           8
        .value_kind:     global_buffer
      - .address_space:  global
        .offset:         16
        .size:           8
        .value_kind:     global_buffer
      - .address_space:  global
        .offset:         24
        .size:           8
        .value_kind:     global_buffer
      - .address_space:  global
        .offset:         32
        .size:           8
        .value_kind:     global_buffer
      - .offset:         40
        .size:           4
        .value_kind:     by_value
      - .address_space:  global
        .offset:         48
        .size:           8
        .value_kind:     global_buffer
      - .address_space:  global
        .offset:         56
        .size:           8
        .value_kind:     global_buffer
      - .address_space:  global
        .offset:         64
        .size:           8
        .value_kind:     global_buffer
      - .offset:         72
        .size:           4
        .value_kind:     by_value
      - .offset:         76
        .size:           4
        .value_kind:     by_value
      - .offset:         80
        .size:           8
        .value_kind:     by_value
      - .offset:         88
        .size:           8
        .value_kind:     by_value
      - .offset:         96
        .size:           8
        .value_kind:     by_value
      - .offset:         104
        .size:           8
        .value_kind:     by_value
      - .offset:         112
        .size:           1
        .value_kind:     by_value
      - .offset:         120
        .size:           4
        .value_kind:     hidden_block_count_x
      - .offset:         124
        .size:           4
        .value_kind:     hidden_block_count_y
      - .offset:         128
        .size:           4
        .value_kind:     hidden_block_count_z
      - .offset:         132
        .size:           2
        .value_kind:     hidden_group_size_x
      - .offset:         134
        .size:           2
        .value_kind:     hidden_group_size_y
      - .offset:         136
        .size:           2
        .value_kind:     hidden_group_size_z
      - .offset:         138
        .size:           2
        .value_kind:     hidden_remainder_x
      - .offset:         140
        .size:           2
        .value_kind:     hidden_remainder_y
      - .offset:         142
        .size:           2
        .value_kind:     hidden_remainder_z
      - .offset:         160
        .size:           8
        .value_kind:     hidden_global_offset_x
      - .offset:         168
        .size:           8
        .value_kind:     hidden_global_offset_y
      - .offset:         176
        .size:           8
        .value_kind:     hidden_global_offset_z
      - .offset:         184
        .size:           2
        .value_kind:     hidden_grid_dims
    .group_segment_fixed_size: 576
    .kernarg_segment_align: 8
    .kernarg_segment_size: 376
    .language:       OpenCL C
    .language_version:
      - 2
      - 0
    .max_flat_workgroup_size: 64
    .name:           _ZN9rocsparseL11bsrilu0_2_8ILj64ELj64ELj8EfEEv20rocsparse_direction_iPKiS3_PT2_S3_iPiS3_S6_21rocsparse_index_base_imNS_24const_host_device_scalarIfEENS8_IdEENS8_IS4_EEb
    .private_segment_fixed_size: 0
    .sgpr_count:     44
    .sgpr_spill_count: 0
    .symbol:         _ZN9rocsparseL11bsrilu0_2_8ILj64ELj64ELj8EfEEv20rocsparse_direction_iPKiS3_PT2_S3_iPiS3_S6_21rocsparse_index_base_imNS_24const_host_device_scalarIfEENS8_IdEENS8_IS4_EEb.kd
    .uniform_work_group_size: 1
    .uses_dynamic_stack: false
    .vgpr_count:     31
    .vgpr_spill_count: 0
    .wavefront_size: 32
    .workgroup_processor_mode: 1
  - .args:
      - .offset:         0
        .size:           4
        .value_kind:     by_value
      - .offset:         4
        .size:           4
        .value_kind:     by_value
      - .address_space:  global
        .offset:         8
        .size:           8
        .value_kind:     global_buffer
      - .address_space:  global
        .offset:         16
        .size:           8
        .value_kind:     global_buffer
      - .address_space:  global
        .offset:         24
        .size:           8
        .value_kind:     global_buffer
      - .address_space:  global
        .offset:         32
        .size:           8
        .value_kind:     global_buffer
      - .offset:         40
        .size:           4
        .value_kind:     by_value
      - .address_space:  global
        .offset:         48
        .size:           8
        .value_kind:     global_buffer
      - .address_space:  global
        .offset:         56
        .size:           8
        .value_kind:     global_buffer
      - .address_space:  global
        .offset:         64
        .size:           8
        .value_kind:     global_buffer
      - .offset:         72
        .size:           4
        .value_kind:     by_value
      - .offset:         76
        .size:           4
        .value_kind:     by_value
      - .offset:         80
        .size:           8
        .value_kind:     by_value
      - .offset:         88
        .size:           8
        .value_kind:     by_value
      - .offset:         96
        .size:           8
        .value_kind:     by_value
      - .offset:         104
        .size:           8
        .value_kind:     by_value
      - .offset:         112
        .size:           1
        .value_kind:     by_value
    .group_segment_fixed_size: 2176
    .kernarg_segment_align: 8
    .kernarg_segment_size: 116
    .language:       OpenCL C
    .language_version:
      - 2
      - 0
    .max_flat_workgroup_size: 64
    .name:           _ZN9rocsparseL12bsrilu0_9_32ILj64ELj64ELj16EfEEv20rocsparse_direction_iPKiS3_PT2_S3_iPiS3_S6_21rocsparse_index_base_imNS_24const_host_device_scalarIfEENS8_IdEENS8_IS4_EEb
    .private_segment_fixed_size: 0
    .sgpr_count:     52
    .sgpr_spill_count: 0
    .symbol:         _ZN9rocsparseL12bsrilu0_9_32ILj64ELj64ELj16EfEEv20rocsparse_direction_iPKiS3_PT2_S3_iPiS3_S6_21rocsparse_index_base_imNS_24const_host_device_scalarIfEENS8_IdEENS8_IS4_EEb.kd
    .uniform_work_group_size: 1
    .uses_dynamic_stack: false
    .vgpr_count:     36
    .vgpr_spill_count: 0
    .wavefront_size: 32
    .workgroup_processor_mode: 1
  - .args:
      - .offset:         0
        .size:           4
        .value_kind:     by_value
      - .offset:         4
        .size:           4
        .value_kind:     by_value
      - .address_space:  global
        .offset:         8
        .size:           8
        .value_kind:     global_buffer
      - .address_space:  global
        .offset:         16
        .size:           8
        .value_kind:     global_buffer
      - .address_space:  global
        .offset:         24
        .size:           8
        .value_kind:     global_buffer
      - .address_space:  global
        .offset:         32
        .size:           8
        .value_kind:     global_buffer
      - .offset:         40
        .size:           4
        .value_kind:     by_value
      - .address_space:  global
        .offset:         48
        .size:           8
        .value_kind:     global_buffer
      - .address_space:  global
        .offset:         56
        .size:           8
        .value_kind:     global_buffer
      - .address_space:  global
        .offset:         64
        .size:           8
        .value_kind:     global_buffer
      - .offset:         72
        .size:           4
        .value_kind:     by_value
      - .offset:         76
        .size:           4
        .value_kind:     by_value
      - .offset:         80
        .size:           8
        .value_kind:     by_value
      - .offset:         88
        .size:           8
        .value_kind:     by_value
      - .offset:         96
        .size:           8
        .value_kind:     by_value
      - .offset:         104
        .size:           8
        .value_kind:     by_value
      - .offset:         112
        .size:           1
        .value_kind:     by_value
    .group_segment_fixed_size: 8448
    .kernarg_segment_align: 8
    .kernarg_segment_size: 116
    .language:       OpenCL C
    .language_version:
      - 2
      - 0
    .max_flat_workgroup_size: 64
    .name:           _ZN9rocsparseL12bsrilu0_9_32ILj64ELj64ELj32EfEEv20rocsparse_direction_iPKiS3_PT2_S3_iPiS3_S6_21rocsparse_index_base_imNS_24const_host_device_scalarIfEENS8_IdEENS8_IS4_EEb
    .private_segment_fixed_size: 0
    .sgpr_count:     52
    .sgpr_spill_count: 0
    .symbol:         _ZN9rocsparseL12bsrilu0_9_32ILj64ELj64ELj32EfEEv20rocsparse_direction_iPKiS3_PT2_S3_iPiS3_S6_21rocsparse_index_base_imNS_24const_host_device_scalarIfEENS8_IdEENS8_IS4_EEb.kd
    .uniform_work_group_size: 1
    .uses_dynamic_stack: false
    .vgpr_count:     36
    .vgpr_spill_count: 0
    .wavefront_size: 32
    .workgroup_processor_mode: 1
  - .args:
      - .offset:         0
        .size:           4
        .value_kind:     by_value
      - .offset:         4
        .size:           4
        .value_kind:     by_value
      - .address_space:  global
        .offset:         8
        .size:           8
        .value_kind:     global_buffer
      - .address_space:  global
        .offset:         16
        .size:           8
        .value_kind:     global_buffer
      - .address_space:  global
        .offset:         24
        .size:           8
        .value_kind:     global_buffer
      - .address_space:  global
        .offset:         32
        .size:           8
        .value_kind:     global_buffer
      - .offset:         40
        .size:           4
        .value_kind:     by_value
      - .address_space:  global
        .offset:         48
        .size:           8
        .value_kind:     global_buffer
      - .address_space:  global
        .offset:         56
        .size:           8
        .value_kind:     global_buffer
      - .address_space:  global
        .offset:         64
        .size:           8
        .value_kind:     global_buffer
      - .offset:         72
        .size:           4
        .value_kind:     by_value
      - .offset:         76
        .size:           4
        .value_kind:     by_value
      - .offset:         80
        .size:           8
        .value_kind:     by_value
      - .offset:         88
        .size:           8
        .value_kind:     by_value
      - .offset:         96
        .size:           8
        .value_kind:     by_value
      - .offset:         104
        .size:           8
        .value_kind:     by_value
      - .offset:         112
        .size:           1
        .value_kind:     by_value
    .group_segment_fixed_size: 16640
    .kernarg_segment_align: 8
    .kernarg_segment_size: 116
    .language:       OpenCL C
    .language_version:
      - 2
      - 0
    .max_flat_workgroup_size: 64
    .name:           _ZN9rocsparseL13bsrilu0_33_64ILj64ELj64ELj64EfEEv20rocsparse_direction_iPKiS3_PT2_S3_iPiS3_S6_21rocsparse_index_base_imNS_24const_host_device_scalarIfEENS8_IdEENS8_IS4_EEb
    .private_segment_fixed_size: 0
    .sgpr_count:     50
    .sgpr_spill_count: 0
    .symbol:         _ZN9rocsparseL13bsrilu0_33_64ILj64ELj64ELj64EfEEv20rocsparse_direction_iPKiS3_PT2_S3_iPiS3_S6_21rocsparse_index_base_imNS_24const_host_device_scalarIfEENS8_IdEENS8_IS4_EEb.kd
    .uniform_work_group_size: 1
    .uses_dynamic_stack: false
    .vgpr_count:     31
    .vgpr_spill_count: 0
    .wavefront_size: 32
    .workgroup_processor_mode: 1
  - .args:
      - .offset:         0
        .size:           4
        .value_kind:     by_value
      - .offset:         4
        .size:           4
        .value_kind:     by_value
      - .address_space:  global
        .offset:         8
        .size:           8
        .value_kind:     global_buffer
      - .address_space:  global
        .offset:         16
        .size:           8
        .value_kind:     global_buffer
      - .address_space:  global
        .offset:         24
        .size:           8
        .value_kind:     global_buffer
      - .address_space:  global
        .offset:         32
        .size:           8
        .value_kind:     global_buffer
      - .offset:         40
        .size:           4
        .value_kind:     by_value
      - .address_space:  global
        .offset:         48
        .size:           8
        .value_kind:     global_buffer
      - .address_space:  global
        .offset:         56
        .size:           8
        .value_kind:     global_buffer
      - .address_space:  global
        .offset:         64
        .size:           8
        .value_kind:     global_buffer
      - .offset:         72
        .size:           4
        .value_kind:     by_value
      - .offset:         76
        .size:           4
        .value_kind:     by_value
      - .offset:         80
        .size:           8
        .value_kind:     by_value
      - .offset:         88
        .size:           8
        .value_kind:     by_value
      - .offset:         96
        .size:           8
        .value_kind:     by_value
      - .offset:         104
        .size:           8
        .value_kind:     by_value
      - .offset:         112
        .size:           1
        .value_kind:     by_value
    .group_segment_fixed_size: 0
    .kernarg_segment_align: 8
    .kernarg_segment_size: 116
    .language:       OpenCL C
    .language_version:
      - 2
      - 0
    .max_flat_workgroup_size: 128
    .name:           _ZN9rocsparseL15bsrilu0_generalILj128ELj64ELb0EfEEv20rocsparse_direction_iPKiS3_PT2_S3_iPiS3_S6_21rocsparse_index_base_imNS_24const_host_device_scalarIfEENS8_IdEENS8_IS4_EEb
    .private_segment_fixed_size: 0
    .sgpr_count:     46
    .sgpr_spill_count: 0
    .symbol:         _ZN9rocsparseL15bsrilu0_generalILj128ELj64ELb0EfEEv20rocsparse_direction_iPKiS3_PT2_S3_iPiS3_S6_21rocsparse_index_base_imNS_24const_host_device_scalarIfEENS8_IdEENS8_IS4_EEb.kd
    .uniform_work_group_size: 1
    .uses_dynamic_stack: false
    .vgpr_count:     37
    .vgpr_spill_count: 0
    .wavefront_size: 32
    .workgroup_processor_mode: 1
  - .args:
      - .offset:         0
        .size:           4
        .value_kind:     by_value
      - .offset:         4
        .size:           4
        .value_kind:     by_value
      - .address_space:  global
        .offset:         8
        .size:           8
        .value_kind:     global_buffer
      - .address_space:  global
        .offset:         16
        .size:           8
        .value_kind:     global_buffer
      - .address_space:  global
        .offset:         24
        .size:           8
        .value_kind:     global_buffer
      - .address_space:  global
        .offset:         32
        .size:           8
        .value_kind:     global_buffer
      - .offset:         40
        .size:           4
        .value_kind:     by_value
      - .address_space:  global
        .offset:         48
        .size:           8
        .value_kind:     global_buffer
      - .address_space:  global
        .offset:         56
        .size:           8
        .value_kind:     global_buffer
      - .address_space:  global
        .offset:         64
        .size:           8
        .value_kind:     global_buffer
      - .offset:         72
        .size:           4
        .value_kind:     by_value
      - .offset:         76
        .size:           4
        .value_kind:     by_value
      - .offset:         80
        .size:           8
        .value_kind:     by_value
      - .offset:         88
        .size:           8
        .value_kind:     by_value
      - .offset:         96
        .size:           8
        .value_kind:     by_value
      - .offset:         104
        .size:           8
        .value_kind:     by_value
      - .offset:         112
        .size:           1
        .value_kind:     by_value
    .group_segment_fixed_size: 0
    .kernarg_segment_align: 8
    .kernarg_segment_size: 116
    .language:       OpenCL C
    .language_version:
      - 2
      - 0
    .max_flat_workgroup_size: 128
    .name:           _ZN9rocsparseL15bsrilu0_generalILj128ELj64ELb1EdEEv20rocsparse_direction_iPKiS3_PT2_S3_iPiS3_S6_21rocsparse_index_base_imNS_24const_host_device_scalarIfEENS8_IdEENS8_IS4_EEb
    .private_segment_fixed_size: 0
    .sgpr_count:     46
    .sgpr_spill_count: 0
    .symbol:         _ZN9rocsparseL15bsrilu0_generalILj128ELj64ELb1EdEEv20rocsparse_direction_iPKiS3_PT2_S3_iPiS3_S6_21rocsparse_index_base_imNS_24const_host_device_scalarIfEENS8_IdEENS8_IS4_EEb.kd
    .uniform_work_group_size: 1
    .uses_dynamic_stack: false
    .vgpr_count:     42
    .vgpr_spill_count: 0
    .wavefront_size: 32
    .workgroup_processor_mode: 1
  - .args:
      - .offset:         0
        .size:           4
        .value_kind:     by_value
      - .offset:         4
        .size:           4
        .value_kind:     by_value
      - .address_space:  global
        .offset:         8
        .size:           8
        .value_kind:     global_buffer
      - .address_space:  global
        .offset:         16
        .size:           8
        .value_kind:     global_buffer
      - .address_space:  global
        .offset:         24
        .size:           8
        .value_kind:     global_buffer
      - .address_space:  global
        .offset:         32
        .size:           8
        .value_kind:     global_buffer
      - .offset:         40
        .size:           4
        .value_kind:     by_value
      - .address_space:  global
        .offset:         48
        .size:           8
        .value_kind:     global_buffer
      - .address_space:  global
        .offset:         56
        .size:           8
        .value_kind:     global_buffer
      - .address_space:  global
        .offset:         64
        .size:           8
        .value_kind:     global_buffer
      - .offset:         72
        .size:           4
        .value_kind:     by_value
      - .offset:         76
        .size:           4
        .value_kind:     by_value
      - .offset:         80
        .size:           8
        .value_kind:     by_value
      - .offset:         88
        .size:           8
        .value_kind:     by_value
      - .offset:         96
        .size:           8
        .value_kind:     by_value
      - .offset:         104
        .size:           8
        .value_kind:     by_value
      - .offset:         112
        .size:           1
        .value_kind:     by_value
    .group_segment_fixed_size: 0
    .kernarg_segment_align: 8
    .kernarg_segment_size: 116
    .language:       OpenCL C
    .language_version:
      - 2
      - 0
    .max_flat_workgroup_size: 128
    .name:           _ZN9rocsparseL15bsrilu0_generalILj128ELj32ELb0EdEEv20rocsparse_direction_iPKiS3_PT2_S3_iPiS3_S6_21rocsparse_index_base_imNS_24const_host_device_scalarIfEENS8_IdEENS8_IS4_EEb
    .private_segment_fixed_size: 0
    .sgpr_count:     46
    .sgpr_spill_count: 0
    .symbol:         _ZN9rocsparseL15bsrilu0_generalILj128ELj32ELb0EdEEv20rocsparse_direction_iPKiS3_PT2_S3_iPiS3_S6_21rocsparse_index_base_imNS_24const_host_device_scalarIfEENS8_IdEENS8_IS4_EEb.kd
    .uniform_work_group_size: 1
    .uses_dynamic_stack: false
    .vgpr_count:     42
    .vgpr_spill_count: 0
    .wavefront_size: 32
    .workgroup_processor_mode: 1
  - .args:
      - .offset:         0
        .size:           4
        .value_kind:     by_value
      - .offset:         4
        .size:           4
        .value_kind:     by_value
      - .address_space:  global
        .offset:         8
        .size:           8
        .value_kind:     global_buffer
      - .address_space:  global
        .offset:         16
        .size:           8
        .value_kind:     global_buffer
      - .address_space:  global
        .offset:         24
        .size:           8
        .value_kind:     global_buffer
      - .address_space:  global
        .offset:         32
        .size:           8
        .value_kind:     global_buffer
      - .offset:         40
        .size:           4
        .value_kind:     by_value
      - .address_space:  global
        .offset:         48
        .size:           8
        .value_kind:     global_buffer
      - .address_space:  global
        .offset:         56
        .size:           8
        .value_kind:     global_buffer
      - .address_space:  global
        .offset:         64
        .size:           8
        .value_kind:     global_buffer
      - .offset:         72
        .size:           4
        .value_kind:     by_value
      - .offset:         76
        .size:           4
        .value_kind:     by_value
      - .offset:         80
        .size:           8
        .value_kind:     by_value
      - .offset:         88
        .size:           8
        .value_kind:     by_value
      - .offset:         96
        .size:           8
        .value_kind:     by_value
      - .offset:         104
        .size:           8
        .value_kind:     by_value
      - .offset:         112
        .size:           1
        .value_kind:     by_value
      - .offset:         120
        .size:           4
        .value_kind:     hidden_block_count_x
      - .offset:         124
        .size:           4
        .value_kind:     hidden_block_count_y
      - .offset:         128
        .size:           4
        .value_kind:     hidden_block_count_z
      - .offset:         132
        .size:           2
        .value_kind:     hidden_group_size_x
      - .offset:         134
        .size:           2
        .value_kind:     hidden_group_size_y
      - .offset:         136
        .size:           2
        .value_kind:     hidden_group_size_z
      - .offset:         138
        .size:           2
        .value_kind:     hidden_remainder_x
      - .offset:         140
        .size:           2
        .value_kind:     hidden_remainder_y
      - .offset:         142
        .size:           2
        .value_kind:     hidden_remainder_z
      - .offset:         160
        .size:           8
        .value_kind:     hidden_global_offset_x
      - .offset:         168
        .size:           8
        .value_kind:     hidden_global_offset_y
      - .offset:         176
        .size:           8
        .value_kind:     hidden_global_offset_z
      - .offset:         184
        .size:           2
        .value_kind:     hidden_grid_dims
    .group_segment_fixed_size: 1152
    .kernarg_segment_align: 8
    .kernarg_segment_size: 376
    .language:       OpenCL C
    .language_version:
      - 2
      - 0
    .max_flat_workgroup_size: 64
    .name:           _ZN9rocsparseL11bsrilu0_2_8ILj64ELj64ELj8EdEEv20rocsparse_direction_iPKiS3_PT2_S3_iPiS3_S6_21rocsparse_index_base_imNS_24const_host_device_scalarIfEENS8_IdEENS8_IS4_EEb
    .private_segment_fixed_size: 0
    .sgpr_count:     44
    .sgpr_spill_count: 0
    .symbol:         _ZN9rocsparseL11bsrilu0_2_8ILj64ELj64ELj8EdEEv20rocsparse_direction_iPKiS3_PT2_S3_iPiS3_S6_21rocsparse_index_base_imNS_24const_host_device_scalarIfEENS8_IdEENS8_IS4_EEb.kd
    .uniform_work_group_size: 1
    .uses_dynamic_stack: false
    .vgpr_count:     38
    .vgpr_spill_count: 0
    .wavefront_size: 32
    .workgroup_processor_mode: 1
  - .args:
      - .offset:         0
        .size:           4
        .value_kind:     by_value
      - .offset:         4
        .size:           4
        .value_kind:     by_value
      - .address_space:  global
        .offset:         8
        .size:           8
        .value_kind:     global_buffer
      - .address_space:  global
        .offset:         16
        .size:           8
        .value_kind:     global_buffer
      - .address_space:  global
        .offset:         24
        .size:           8
        .value_kind:     global_buffer
      - .address_space:  global
        .offset:         32
        .size:           8
        .value_kind:     global_buffer
      - .offset:         40
        .size:           4
        .value_kind:     by_value
      - .address_space:  global
        .offset:         48
        .size:           8
        .value_kind:     global_buffer
      - .address_space:  global
        .offset:         56
        .size:           8
        .value_kind:     global_buffer
      - .address_space:  global
        .offset:         64
        .size:           8
        .value_kind:     global_buffer
      - .offset:         72
        .size:           4
        .value_kind:     by_value
      - .offset:         76
        .size:           4
        .value_kind:     by_value
      - .offset:         80
        .size:           8
        .value_kind:     by_value
      - .offset:         88
        .size:           8
        .value_kind:     by_value
      - .offset:         96
        .size:           8
        .value_kind:     by_value
      - .offset:         104
        .size:           8
        .value_kind:     by_value
      - .offset:         112
        .size:           1
        .value_kind:     by_value
    .group_segment_fixed_size: 4352
    .kernarg_segment_align: 8
    .kernarg_segment_size: 116
    .language:       OpenCL C
    .language_version:
      - 2
      - 0
    .max_flat_workgroup_size: 64
    .name:           _ZN9rocsparseL12bsrilu0_9_32ILj64ELj64ELj16EdEEv20rocsparse_direction_iPKiS3_PT2_S3_iPiS3_S6_21rocsparse_index_base_imNS_24const_host_device_scalarIfEENS8_IdEENS8_IS4_EEb
    .private_segment_fixed_size: 0
    .sgpr_count:     48
    .sgpr_spill_count: 0
    .symbol:         _ZN9rocsparseL12bsrilu0_9_32ILj64ELj64ELj16EdEEv20rocsparse_direction_iPKiS3_PT2_S3_iPiS3_S6_21rocsparse_index_base_imNS_24const_host_device_scalarIfEENS8_IdEENS8_IS4_EEb.kd
    .uniform_work_group_size: 1
    .uses_dynamic_stack: false
    .vgpr_count:     37
    .vgpr_spill_count: 0
    .wavefront_size: 32
    .workgroup_processor_mode: 1
  - .args:
      - .offset:         0
        .size:           4
        .value_kind:     by_value
      - .offset:         4
        .size:           4
        .value_kind:     by_value
      - .address_space:  global
        .offset:         8
        .size:           8
        .value_kind:     global_buffer
      - .address_space:  global
        .offset:         16
        .size:           8
        .value_kind:     global_buffer
      - .address_space:  global
        .offset:         24
        .size:           8
        .value_kind:     global_buffer
      - .address_space:  global
        .offset:         32
        .size:           8
        .value_kind:     global_buffer
      - .offset:         40
        .size:           4
        .value_kind:     by_value
      - .address_space:  global
        .offset:         48
        .size:           8
        .value_kind:     global_buffer
      - .address_space:  global
        .offset:         56
        .size:           8
        .value_kind:     global_buffer
      - .address_space:  global
        .offset:         64
        .size:           8
        .value_kind:     global_buffer
      - .offset:         72
        .size:           4
        .value_kind:     by_value
      - .offset:         76
        .size:           4
        .value_kind:     by_value
      - .offset:         80
        .size:           8
        .value_kind:     by_value
      - .offset:         88
        .size:           8
        .value_kind:     by_value
      - .offset:         96
        .size:           8
        .value_kind:     by_value
      - .offset:         104
        .size:           8
        .value_kind:     by_value
      - .offset:         112
        .size:           1
        .value_kind:     by_value
    .group_segment_fixed_size: 16896
    .kernarg_segment_align: 8
    .kernarg_segment_size: 116
    .language:       OpenCL C
    .language_version:
      - 2
      - 0
    .max_flat_workgroup_size: 64
    .name:           _ZN9rocsparseL12bsrilu0_9_32ILj64ELj64ELj32EdEEv20rocsparse_direction_iPKiS3_PT2_S3_iPiS3_S6_21rocsparse_index_base_imNS_24const_host_device_scalarIfEENS8_IdEENS8_IS4_EEb
    .private_segment_fixed_size: 0
    .sgpr_count:     48
    .sgpr_spill_count: 0
    .symbol:         _ZN9rocsparseL12bsrilu0_9_32ILj64ELj64ELj32EdEEv20rocsparse_direction_iPKiS3_PT2_S3_iPiS3_S6_21rocsparse_index_base_imNS_24const_host_device_scalarIfEENS8_IdEENS8_IS4_EEb.kd
    .uniform_work_group_size: 1
    .uses_dynamic_stack: false
    .vgpr_count:     37
    .vgpr_spill_count: 0
    .wavefront_size: 32
    .workgroup_processor_mode: 1
  - .args:
      - .offset:         0
        .size:           4
        .value_kind:     by_value
      - .offset:         4
        .size:           4
        .value_kind:     by_value
      - .address_space:  global
        .offset:         8
        .size:           8
        .value_kind:     global_buffer
      - .address_space:  global
        .offset:         16
        .size:           8
        .value_kind:     global_buffer
      - .address_space:  global
        .offset:         24
        .size:           8
        .value_kind:     global_buffer
      - .address_space:  global
        .offset:         32
        .size:           8
        .value_kind:     global_buffer
      - .offset:         40
        .size:           4
        .value_kind:     by_value
      - .address_space:  global
        .offset:         48
        .size:           8
        .value_kind:     global_buffer
      - .address_space:  global
        .offset:         56
        .size:           8
        .value_kind:     global_buffer
      - .address_space:  global
        .offset:         64
        .size:           8
        .value_kind:     global_buffer
      - .offset:         72
        .size:           4
        .value_kind:     by_value
      - .offset:         76
        .size:           4
        .value_kind:     by_value
      - .offset:         80
        .size:           8
        .value_kind:     by_value
      - .offset:         88
        .size:           8
        .value_kind:     by_value
      - .offset:         96
        .size:           8
        .value_kind:     by_value
      - .offset:         104
        .size:           8
        .value_kind:     by_value
      - .offset:         112
        .size:           1
        .value_kind:     by_value
    .group_segment_fixed_size: 33280
    .kernarg_segment_align: 8
    .kernarg_segment_size: 116
    .language:       OpenCL C
    .language_version:
      - 2
      - 0
    .max_flat_workgroup_size: 64
    .name:           _ZN9rocsparseL13bsrilu0_33_64ILj64ELj64ELj64EdEEv20rocsparse_direction_iPKiS3_PT2_S3_iPiS3_S6_21rocsparse_index_base_imNS_24const_host_device_scalarIfEENS8_IdEENS8_IS4_EEb
    .private_segment_fixed_size: 0
    .sgpr_count:     50
    .sgpr_spill_count: 0
    .symbol:         _ZN9rocsparseL13bsrilu0_33_64ILj64ELj64ELj64EdEEv20rocsparse_direction_iPKiS3_PT2_S3_iPiS3_S6_21rocsparse_index_base_imNS_24const_host_device_scalarIfEENS8_IdEENS8_IS4_EEb.kd
    .uniform_work_group_size: 1
    .uses_dynamic_stack: false
    .vgpr_count:     36
    .vgpr_spill_count: 0
    .wavefront_size: 32
    .workgroup_processor_mode: 1
  - .args:
      - .offset:         0
        .size:           4
        .value_kind:     by_value
      - .offset:         4
        .size:           4
        .value_kind:     by_value
      - .address_space:  global
        .offset:         8
        .size:           8
        .value_kind:     global_buffer
      - .address_space:  global
        .offset:         16
        .size:           8
        .value_kind:     global_buffer
      - .address_space:  global
        .offset:         24
        .size:           8
        .value_kind:     global_buffer
      - .address_space:  global
        .offset:         32
        .size:           8
        .value_kind:     global_buffer
      - .offset:         40
        .size:           4
        .value_kind:     by_value
      - .address_space:  global
        .offset:         48
        .size:           8
        .value_kind:     global_buffer
      - .address_space:  global
        .offset:         56
        .size:           8
        .value_kind:     global_buffer
      - .address_space:  global
        .offset:         64
        .size:           8
        .value_kind:     global_buffer
      - .offset:         72
        .size:           4
        .value_kind:     by_value
      - .offset:         76
        .size:           4
        .value_kind:     by_value
      - .offset:         80
        .size:           8
        .value_kind:     by_value
      - .offset:         88
        .size:           8
        .value_kind:     by_value
      - .offset:         96
        .size:           8
        .value_kind:     by_value
      - .offset:         104
        .size:           8
        .value_kind:     by_value
      - .offset:         112
        .size:           1
        .value_kind:     by_value
    .group_segment_fixed_size: 0
    .kernarg_segment_align: 8
    .kernarg_segment_size: 116
    .language:       OpenCL C
    .language_version:
      - 2
      - 0
    .max_flat_workgroup_size: 128
    .name:           _ZN9rocsparseL15bsrilu0_generalILj128ELj64ELb0EdEEv20rocsparse_direction_iPKiS3_PT2_S3_iPiS3_S6_21rocsparse_index_base_imNS_24const_host_device_scalarIfEENS8_IdEENS8_IS4_EEb
    .private_segment_fixed_size: 0
    .sgpr_count:     46
    .sgpr_spill_count: 0
    .symbol:         _ZN9rocsparseL15bsrilu0_generalILj128ELj64ELb0EdEEv20rocsparse_direction_iPKiS3_PT2_S3_iPiS3_S6_21rocsparse_index_base_imNS_24const_host_device_scalarIfEENS8_IdEENS8_IS4_EEb.kd
    .uniform_work_group_size: 1
    .uses_dynamic_stack: false
    .vgpr_count:     42
    .vgpr_spill_count: 0
    .wavefront_size: 32
    .workgroup_processor_mode: 1
  - .args:
      - .offset:         0
        .size:           4
        .value_kind:     by_value
      - .offset:         4
        .size:           4
        .value_kind:     by_value
      - .address_space:  global
        .offset:         8
        .size:           8
        .value_kind:     global_buffer
      - .address_space:  global
        .offset:         16
        .size:           8
        .value_kind:     global_buffer
      - .address_space:  global
        .offset:         24
        .size:           8
        .value_kind:     global_buffer
      - .address_space:  global
        .offset:         32
        .size:           8
        .value_kind:     global_buffer
      - .offset:         40
        .size:           4
        .value_kind:     by_value
      - .address_space:  global
        .offset:         48
        .size:           8
        .value_kind:     global_buffer
      - .address_space:  global
        .offset:         56
        .size:           8
        .value_kind:     global_buffer
      - .address_space:  global
        .offset:         64
        .size:           8
        .value_kind:     global_buffer
      - .offset:         72
        .size:           4
        .value_kind:     by_value
      - .offset:         76
        .size:           4
        .value_kind:     by_value
      - .offset:         80
        .size:           8
        .value_kind:     by_value
      - .offset:         88
        .size:           8
        .value_kind:     by_value
      - .offset:         96
        .size:           8
        .value_kind:     by_value
      - .offset:         104
        .size:           8
        .value_kind:     by_value
      - .offset:         112
        .size:           1
        .value_kind:     by_value
    .group_segment_fixed_size: 0
    .kernarg_segment_align: 8
    .kernarg_segment_size: 116
    .language:       OpenCL C
    .language_version:
      - 2
      - 0
    .max_flat_workgroup_size: 128
    .name:           _ZN9rocsparseL15bsrilu0_generalILj128ELj64ELb1E21rocsparse_complex_numIfEEEv20rocsparse_direction_iPKiS5_PT2_S5_iPiS5_S8_21rocsparse_index_base_imNS_24const_host_device_scalarIfEENSA_IdEENSA_IS6_EEb
    .private_segment_fixed_size: 0
    .sgpr_count:     47
    .sgpr_spill_count: 0
    .symbol:         _ZN9rocsparseL15bsrilu0_generalILj128ELj64ELb1E21rocsparse_complex_numIfEEEv20rocsparse_direction_iPKiS5_PT2_S5_iPiS5_S8_21rocsparse_index_base_imNS_24const_host_device_scalarIfEENSA_IdEENSA_IS6_EEb.kd
    .uniform_work_group_size: 1
    .uses_dynamic_stack: false
    .vgpr_count:     41
    .vgpr_spill_count: 0
    .wavefront_size: 32
    .workgroup_processor_mode: 1
  - .args:
      - .offset:         0
        .size:           4
        .value_kind:     by_value
      - .offset:         4
        .size:           4
        .value_kind:     by_value
      - .address_space:  global
        .offset:         8
        .size:           8
        .value_kind:     global_buffer
      - .address_space:  global
        .offset:         16
        .size:           8
        .value_kind:     global_buffer
      - .address_space:  global
        .offset:         24
        .size:           8
        .value_kind:     global_buffer
      - .address_space:  global
        .offset:         32
        .size:           8
        .value_kind:     global_buffer
      - .offset:         40
        .size:           4
        .value_kind:     by_value
      - .address_space:  global
        .offset:         48
        .size:           8
        .value_kind:     global_buffer
      - .address_space:  global
        .offset:         56
        .size:           8
        .value_kind:     global_buffer
      - .address_space:  global
        .offset:         64
        .size:           8
        .value_kind:     global_buffer
      - .offset:         72
        .size:           4
        .value_kind:     by_value
      - .offset:         76
        .size:           4
        .value_kind:     by_value
      - .offset:         80
        .size:           8
        .value_kind:     by_value
      - .offset:         88
        .size:           8
        .value_kind:     by_value
      - .offset:         96
        .size:           8
        .value_kind:     by_value
      - .offset:         104
        .size:           8
        .value_kind:     by_value
      - .offset:         112
        .size:           1
        .value_kind:     by_value
    .group_segment_fixed_size: 0
    .kernarg_segment_align: 8
    .kernarg_segment_size: 116
    .language:       OpenCL C
    .language_version:
      - 2
      - 0
    .max_flat_workgroup_size: 128
    .name:           _ZN9rocsparseL15bsrilu0_generalILj128ELj32ELb0E21rocsparse_complex_numIfEEEv20rocsparse_direction_iPKiS5_PT2_S5_iPiS5_S8_21rocsparse_index_base_imNS_24const_host_device_scalarIfEENSA_IdEENSA_IS6_EEb
    .private_segment_fixed_size: 0
    .sgpr_count:     47
    .sgpr_spill_count: 0
    .symbol:         _ZN9rocsparseL15bsrilu0_generalILj128ELj32ELb0E21rocsparse_complex_numIfEEEv20rocsparse_direction_iPKiS5_PT2_S5_iPiS5_S8_21rocsparse_index_base_imNS_24const_host_device_scalarIfEENSA_IdEENSA_IS6_EEb.kd
    .uniform_work_group_size: 1
    .uses_dynamic_stack: false
    .vgpr_count:     41
    .vgpr_spill_count: 0
    .wavefront_size: 32
    .workgroup_processor_mode: 1
  - .args:
      - .offset:         0
        .size:           4
        .value_kind:     by_value
      - .offset:         4
        .size:           4
        .value_kind:     by_value
      - .address_space:  global
        .offset:         8
        .size:           8
        .value_kind:     global_buffer
      - .address_space:  global
        .offset:         16
        .size:           8
        .value_kind:     global_buffer
      - .address_space:  global
        .offset:         24
        .size:           8
        .value_kind:     global_buffer
      - .address_space:  global
        .offset:         32
        .size:           8
        .value_kind:     global_buffer
      - .offset:         40
        .size:           4
        .value_kind:     by_value
      - .address_space:  global
        .offset:         48
        .size:           8
        .value_kind:     global_buffer
      - .address_space:  global
        .offset:         56
        .size:           8
        .value_kind:     global_buffer
      - .address_space:  global
        .offset:         64
        .size:           8
        .value_kind:     global_buffer
      - .offset:         72
        .size:           4
        .value_kind:     by_value
      - .offset:         76
        .size:           4
        .value_kind:     by_value
      - .offset:         80
        .size:           8
        .value_kind:     by_value
      - .offset:         88
        .size:           8
        .value_kind:     by_value
      - .offset:         96
        .size:           8
        .value_kind:     by_value
      - .offset:         104
        .size:           8
        .value_kind:     by_value
      - .offset:         112
        .size:           1
        .value_kind:     by_value
      - .offset:         120
        .size:           4
        .value_kind:     hidden_block_count_x
      - .offset:         124
        .size:           4
        .value_kind:     hidden_block_count_y
      - .offset:         128
        .size:           4
        .value_kind:     hidden_block_count_z
      - .offset:         132
        .size:           2
        .value_kind:     hidden_group_size_x
      - .offset:         134
        .size:           2
        .value_kind:     hidden_group_size_y
      - .offset:         136
        .size:           2
        .value_kind:     hidden_group_size_z
      - .offset:         138
        .size:           2
        .value_kind:     hidden_remainder_x
      - .offset:         140
        .size:           2
        .value_kind:     hidden_remainder_y
      - .offset:         142
        .size:           2
        .value_kind:     hidden_remainder_z
      - .offset:         160
        .size:           8
        .value_kind:     hidden_global_offset_x
      - .offset:         168
        .size:           8
        .value_kind:     hidden_global_offset_y
      - .offset:         176
        .size:           8
        .value_kind:     hidden_global_offset_z
      - .offset:         184
        .size:           2
        .value_kind:     hidden_grid_dims
    .group_segment_fixed_size: 1152
    .kernarg_segment_align: 8
    .kernarg_segment_size: 376
    .language:       OpenCL C
    .language_version:
      - 2
      - 0
    .max_flat_workgroup_size: 64
    .name:           _ZN9rocsparseL11bsrilu0_2_8ILj64ELj64ELj8E21rocsparse_complex_numIfEEEv20rocsparse_direction_iPKiS5_PT2_S5_iPiS5_S8_21rocsparse_index_base_imNS_24const_host_device_scalarIfEENSA_IdEENSA_IS6_EEb
    .private_segment_fixed_size: 0
    .sgpr_count:     46
    .sgpr_spill_count: 0
    .symbol:         _ZN9rocsparseL11bsrilu0_2_8ILj64ELj64ELj8E21rocsparse_complex_numIfEEEv20rocsparse_direction_iPKiS5_PT2_S5_iPiS5_S8_21rocsparse_index_base_imNS_24const_host_device_scalarIfEENSA_IdEENSA_IS6_EEb.kd
    .uniform_work_group_size: 1
    .uses_dynamic_stack: false
    .vgpr_count:     34
    .vgpr_spill_count: 0
    .wavefront_size: 32
    .workgroup_processor_mode: 1
  - .args:
      - .offset:         0
        .size:           4
        .value_kind:     by_value
      - .offset:         4
        .size:           4
        .value_kind:     by_value
      - .address_space:  global
        .offset:         8
        .size:           8
        .value_kind:     global_buffer
      - .address_space:  global
        .offset:         16
        .size:           8
        .value_kind:     global_buffer
      - .address_space:  global
        .offset:         24
        .size:           8
        .value_kind:     global_buffer
      - .address_space:  global
        .offset:         32
        .size:           8
        .value_kind:     global_buffer
      - .offset:         40
        .size:           4
        .value_kind:     by_value
      - .address_space:  global
        .offset:         48
        .size:           8
        .value_kind:     global_buffer
      - .address_space:  global
        .offset:         56
        .size:           8
        .value_kind:     global_buffer
      - .address_space:  global
        .offset:         64
        .size:           8
        .value_kind:     global_buffer
      - .offset:         72
        .size:           4
        .value_kind:     by_value
      - .offset:         76
        .size:           4
        .value_kind:     by_value
      - .offset:         80
        .size:           8
        .value_kind:     by_value
      - .offset:         88
        .size:           8
        .value_kind:     by_value
      - .offset:         96
        .size:           8
        .value_kind:     by_value
      - .offset:         104
        .size:           8
        .value_kind:     by_value
      - .offset:         112
        .size:           1
        .value_kind:     by_value
    .group_segment_fixed_size: 4352
    .kernarg_segment_align: 8
    .kernarg_segment_size: 116
    .language:       OpenCL C
    .language_version:
      - 2
      - 0
    .max_flat_workgroup_size: 64
    .name:           _ZN9rocsparseL12bsrilu0_9_32ILj64ELj64ELj16E21rocsparse_complex_numIfEEEv20rocsparse_direction_iPKiS5_PT2_S5_iPiS5_S8_21rocsparse_index_base_imNS_24const_host_device_scalarIfEENSA_IdEENSA_IS6_EEb
    .private_segment_fixed_size: 0
    .sgpr_count:     49
    .sgpr_spill_count: 0
    .symbol:         _ZN9rocsparseL12bsrilu0_9_32ILj64ELj64ELj16E21rocsparse_complex_numIfEEEv20rocsparse_direction_iPKiS5_PT2_S5_iPiS5_S8_21rocsparse_index_base_imNS_24const_host_device_scalarIfEENSA_IdEENSA_IS6_EEb.kd
    .uniform_work_group_size: 1
    .uses_dynamic_stack: false
    .vgpr_count:     35
    .vgpr_spill_count: 0
    .wavefront_size: 32
    .workgroup_processor_mode: 1
  - .args:
      - .offset:         0
        .size:           4
        .value_kind:     by_value
      - .offset:         4
        .size:           4
        .value_kind:     by_value
      - .address_space:  global
        .offset:         8
        .size:           8
        .value_kind:     global_buffer
      - .address_space:  global
        .offset:         16
        .size:           8
        .value_kind:     global_buffer
      - .address_space:  global
        .offset:         24
        .size:           8
        .value_kind:     global_buffer
      - .address_space:  global
        .offset:         32
        .size:           8
        .value_kind:     global_buffer
      - .offset:         40
        .size:           4
        .value_kind:     by_value
      - .address_space:  global
        .offset:         48
        .size:           8
        .value_kind:     global_buffer
      - .address_space:  global
        .offset:         56
        .size:           8
        .value_kind:     global_buffer
      - .address_space:  global
        .offset:         64
        .size:           8
        .value_kind:     global_buffer
      - .offset:         72
        .size:           4
        .value_kind:     by_value
      - .offset:         76
        .size:           4
        .value_kind:     by_value
      - .offset:         80
        .size:           8
        .value_kind:     by_value
      - .offset:         88
        .size:           8
        .value_kind:     by_value
      - .offset:         96
        .size:           8
        .value_kind:     by_value
      - .offset:         104
        .size:           8
        .value_kind:     by_value
      - .offset:         112
        .size:           1
        .value_kind:     by_value
    .group_segment_fixed_size: 16896
    .kernarg_segment_align: 8
    .kernarg_segment_size: 116
    .language:       OpenCL C
    .language_version:
      - 2
      - 0
    .max_flat_workgroup_size: 64
    .name:           _ZN9rocsparseL12bsrilu0_9_32ILj64ELj64ELj32E21rocsparse_complex_numIfEEEv20rocsparse_direction_iPKiS5_PT2_S5_iPiS5_S8_21rocsparse_index_base_imNS_24const_host_device_scalarIfEENSA_IdEENSA_IS6_EEb
    .private_segment_fixed_size: 0
    .sgpr_count:     49
    .sgpr_spill_count: 0
    .symbol:         _ZN9rocsparseL12bsrilu0_9_32ILj64ELj64ELj32E21rocsparse_complex_numIfEEEv20rocsparse_direction_iPKiS5_PT2_S5_iPiS5_S8_21rocsparse_index_base_imNS_24const_host_device_scalarIfEENSA_IdEENSA_IS6_EEb.kd
    .uniform_work_group_size: 1
    .uses_dynamic_stack: false
    .vgpr_count:     35
    .vgpr_spill_count: 0
    .wavefront_size: 32
    .workgroup_processor_mode: 1
  - .args:
      - .offset:         0
        .size:           4
        .value_kind:     by_value
      - .offset:         4
        .size:           4
        .value_kind:     by_value
      - .address_space:  global
        .offset:         8
        .size:           8
        .value_kind:     global_buffer
      - .address_space:  global
        .offset:         16
        .size:           8
        .value_kind:     global_buffer
      - .address_space:  global
        .offset:         24
        .size:           8
        .value_kind:     global_buffer
      - .address_space:  global
        .offset:         32
        .size:           8
        .value_kind:     global_buffer
      - .offset:         40
        .size:           4
        .value_kind:     by_value
      - .address_space:  global
        .offset:         48
        .size:           8
        .value_kind:     global_buffer
      - .address_space:  global
        .offset:         56
        .size:           8
        .value_kind:     global_buffer
      - .address_space:  global
        .offset:         64
        .size:           8
        .value_kind:     global_buffer
      - .offset:         72
        .size:           4
        .value_kind:     by_value
      - .offset:         76
        .size:           4
        .value_kind:     by_value
      - .offset:         80
        .size:           8
        .value_kind:     by_value
      - .offset:         88
        .size:           8
        .value_kind:     by_value
      - .offset:         96
        .size:           8
        .value_kind:     by_value
      - .offset:         104
        .size:           8
        .value_kind:     by_value
      - .offset:         112
        .size:           1
        .value_kind:     by_value
    .group_segment_fixed_size: 33280
    .kernarg_segment_align: 8
    .kernarg_segment_size: 116
    .language:       OpenCL C
    .language_version:
      - 2
      - 0
    .max_flat_workgroup_size: 64
    .name:           _ZN9rocsparseL13bsrilu0_33_64ILj64ELj64ELj64E21rocsparse_complex_numIfEEEv20rocsparse_direction_iPKiS5_PT2_S5_iPiS5_S8_21rocsparse_index_base_imNS_24const_host_device_scalarIfEENSA_IdEENSA_IS6_EEb
    .private_segment_fixed_size: 0
    .sgpr_count:     51
    .sgpr_spill_count: 0
    .symbol:         _ZN9rocsparseL13bsrilu0_33_64ILj64ELj64ELj64E21rocsparse_complex_numIfEEEv20rocsparse_direction_iPKiS5_PT2_S5_iPiS5_S8_21rocsparse_index_base_imNS_24const_host_device_scalarIfEENSA_IdEENSA_IS6_EEb.kd
    .uniform_work_group_size: 1
    .uses_dynamic_stack: false
    .vgpr_count:     36
    .vgpr_spill_count: 0
    .wavefront_size: 32
    .workgroup_processor_mode: 1
  - .args:
      - .offset:         0
        .size:           4
        .value_kind:     by_value
      - .offset:         4
        .size:           4
        .value_kind:     by_value
      - .address_space:  global
        .offset:         8
        .size:           8
        .value_kind:     global_buffer
      - .address_space:  global
        .offset:         16
        .size:           8
        .value_kind:     global_buffer
      - .address_space:  global
        .offset:         24
        .size:           8
        .value_kind:     global_buffer
      - .address_space:  global
        .offset:         32
        .size:           8
        .value_kind:     global_buffer
      - .offset:         40
        .size:           4
        .value_kind:     by_value
      - .address_space:  global
        .offset:         48
        .size:           8
        .value_kind:     global_buffer
      - .address_space:  global
        .offset:         56
        .size:           8
        .value_kind:     global_buffer
      - .address_space:  global
        .offset:         64
        .size:           8
        .value_kind:     global_buffer
      - .offset:         72
        .size:           4
        .value_kind:     by_value
      - .offset:         76
        .size:           4
        .value_kind:     by_value
      - .offset:         80
        .size:           8
        .value_kind:     by_value
      - .offset:         88
        .size:           8
        .value_kind:     by_value
      - .offset:         96
        .size:           8
        .value_kind:     by_value
      - .offset:         104
        .size:           8
        .value_kind:     by_value
      - .offset:         112
        .size:           1
        .value_kind:     by_value
    .group_segment_fixed_size: 0
    .kernarg_segment_align: 8
    .kernarg_segment_size: 116
    .language:       OpenCL C
    .language_version:
      - 2
      - 0
    .max_flat_workgroup_size: 128
    .name:           _ZN9rocsparseL15bsrilu0_generalILj128ELj64ELb0E21rocsparse_complex_numIfEEEv20rocsparse_direction_iPKiS5_PT2_S5_iPiS5_S8_21rocsparse_index_base_imNS_24const_host_device_scalarIfEENSA_IdEENSA_IS6_EEb
    .private_segment_fixed_size: 0
    .sgpr_count:     47
    .sgpr_spill_count: 0
    .symbol:         _ZN9rocsparseL15bsrilu0_generalILj128ELj64ELb0E21rocsparse_complex_numIfEEEv20rocsparse_direction_iPKiS5_PT2_S5_iPiS5_S8_21rocsparse_index_base_imNS_24const_host_device_scalarIfEENSA_IdEENSA_IS6_EEb.kd
    .uniform_work_group_size: 1
    .uses_dynamic_stack: false
    .vgpr_count:     41
    .vgpr_spill_count: 0
    .wavefront_size: 32
    .workgroup_processor_mode: 1
  - .args:
      - .offset:         0
        .size:           4
        .value_kind:     by_value
      - .offset:         4
        .size:           4
        .value_kind:     by_value
      - .address_space:  global
        .offset:         8
        .size:           8
        .value_kind:     global_buffer
      - .address_space:  global
        .offset:         16
        .size:           8
        .value_kind:     global_buffer
      - .address_space:  global
        .offset:         24
        .size:           8
        .value_kind:     global_buffer
      - .address_space:  global
        .offset:         32
        .size:           8
        .value_kind:     global_buffer
      - .offset:         40
        .size:           4
        .value_kind:     by_value
      - .address_space:  global
        .offset:         48
        .size:           8
        .value_kind:     global_buffer
      - .address_space:  global
        .offset:         56
        .size:           8
        .value_kind:     global_buffer
      - .address_space:  global
        .offset:         64
        .size:           8
        .value_kind:     global_buffer
      - .offset:         72
        .size:           4
        .value_kind:     by_value
      - .offset:         76
        .size:           4
        .value_kind:     by_value
      - .offset:         80
        .size:           8
        .value_kind:     by_value
      - .offset:         88
        .size:           8
        .value_kind:     by_value
      - .offset:         96
        .size:           8
        .value_kind:     by_value
      - .offset:         104
        .size:           16
        .value_kind:     by_value
      - .offset:         120
        .size:           1
        .value_kind:     by_value
    .group_segment_fixed_size: 0
    .kernarg_segment_align: 8
    .kernarg_segment_size: 124
    .language:       OpenCL C
    .language_version:
      - 2
      - 0
    .max_flat_workgroup_size: 128
    .name:           _ZN9rocsparseL15bsrilu0_generalILj128ELj64ELb1E21rocsparse_complex_numIdEEEv20rocsparse_direction_iPKiS5_PT2_S5_iPiS5_S8_21rocsparse_index_base_imNS_24const_host_device_scalarIfEENSA_IdEENSA_IS6_EEb
    .private_segment_fixed_size: 48
    .sgpr_count:     49
    .sgpr_spill_count: 0
    .symbol:         _ZN9rocsparseL15bsrilu0_generalILj128ELj64ELb1E21rocsparse_complex_numIdEEEv20rocsparse_direction_iPKiS5_PT2_S5_iPiS5_S8_21rocsparse_index_base_imNS_24const_host_device_scalarIfEENSA_IdEENSA_IS6_EEb.kd
    .uniform_work_group_size: 1
    .uses_dynamic_stack: false
    .vgpr_count:     50
    .vgpr_spill_count: 0
    .wavefront_size: 32
    .workgroup_processor_mode: 1
  - .args:
      - .offset:         0
        .size:           4
        .value_kind:     by_value
      - .offset:         4
        .size:           4
        .value_kind:     by_value
      - .address_space:  global
        .offset:         8
        .size:           8
        .value_kind:     global_buffer
      - .address_space:  global
        .offset:         16
        .size:           8
        .value_kind:     global_buffer
      - .address_space:  global
        .offset:         24
        .size:           8
        .value_kind:     global_buffer
      - .address_space:  global
        .offset:         32
        .size:           8
        .value_kind:     global_buffer
      - .offset:         40
        .size:           4
        .value_kind:     by_value
      - .address_space:  global
        .offset:         48
        .size:           8
        .value_kind:     global_buffer
      - .address_space:  global
        .offset:         56
        .size:           8
        .value_kind:     global_buffer
      - .address_space:  global
        .offset:         64
        .size:           8
        .value_kind:     global_buffer
      - .offset:         72
        .size:           4
        .value_kind:     by_value
      - .offset:         76
        .size:           4
        .value_kind:     by_value
      - .offset:         80
        .size:           8
        .value_kind:     by_value
      - .offset:         88
        .size:           8
        .value_kind:     by_value
      - .offset:         96
        .size:           8
        .value_kind:     by_value
      - .offset:         104
        .size:           16
        .value_kind:     by_value
      - .offset:         120
        .size:           1
        .value_kind:     by_value
    .group_segment_fixed_size: 0
    .kernarg_segment_align: 8
    .kernarg_segment_size: 124
    .language:       OpenCL C
    .language_version:
      - 2
      - 0
    .max_flat_workgroup_size: 128
    .name:           _ZN9rocsparseL15bsrilu0_generalILj128ELj32ELb0E21rocsparse_complex_numIdEEEv20rocsparse_direction_iPKiS5_PT2_S5_iPiS5_S8_21rocsparse_index_base_imNS_24const_host_device_scalarIfEENSA_IdEENSA_IS6_EEb
    .private_segment_fixed_size: 48
    .sgpr_count:     49
    .sgpr_spill_count: 0
    .symbol:         _ZN9rocsparseL15bsrilu0_generalILj128ELj32ELb0E21rocsparse_complex_numIdEEEv20rocsparse_direction_iPKiS5_PT2_S5_iPiS5_S8_21rocsparse_index_base_imNS_24const_host_device_scalarIfEENSA_IdEENSA_IS6_EEb.kd
    .uniform_work_group_size: 1
    .uses_dynamic_stack: false
    .vgpr_count:     50
    .vgpr_spill_count: 0
    .wavefront_size: 32
    .workgroup_processor_mode: 1
  - .args:
      - .offset:         0
        .size:           4
        .value_kind:     by_value
      - .offset:         4
        .size:           4
        .value_kind:     by_value
      - .address_space:  global
        .offset:         8
        .size:           8
        .value_kind:     global_buffer
      - .address_space:  global
        .offset:         16
        .size:           8
        .value_kind:     global_buffer
      - .address_space:  global
        .offset:         24
        .size:           8
        .value_kind:     global_buffer
      - .address_space:  global
        .offset:         32
        .size:           8
        .value_kind:     global_buffer
      - .offset:         40
        .size:           4
        .value_kind:     by_value
      - .address_space:  global
        .offset:         48
        .size:           8
        .value_kind:     global_buffer
      - .address_space:  global
        .offset:         56
        .size:           8
        .value_kind:     global_buffer
      - .address_space:  global
        .offset:         64
        .size:           8
        .value_kind:     global_buffer
      - .offset:         72
        .size:           4
        .value_kind:     by_value
      - .offset:         76
        .size:           4
        .value_kind:     by_value
      - .offset:         80
        .size:           8
        .value_kind:     by_value
      - .offset:         88
        .size:           8
        .value_kind:     by_value
      - .offset:         96
        .size:           8
        .value_kind:     by_value
      - .offset:         104
        .size:           16
        .value_kind:     by_value
      - .offset:         120
        .size:           1
        .value_kind:     by_value
      - .offset:         128
        .size:           4
        .value_kind:     hidden_block_count_x
      - .offset:         132
        .size:           4
        .value_kind:     hidden_block_count_y
      - .offset:         136
        .size:           4
        .value_kind:     hidden_block_count_z
      - .offset:         140
        .size:           2
        .value_kind:     hidden_group_size_x
      - .offset:         142
        .size:           2
        .value_kind:     hidden_group_size_y
      - .offset:         144
        .size:           2
        .value_kind:     hidden_group_size_z
      - .offset:         146
        .size:           2
        .value_kind:     hidden_remainder_x
      - .offset:         148
        .size:           2
        .value_kind:     hidden_remainder_y
      - .offset:         150
        .size:           2
        .value_kind:     hidden_remainder_z
      - .offset:         168
        .size:           8
        .value_kind:     hidden_global_offset_x
      - .offset:         176
        .size:           8
        .value_kind:     hidden_global_offset_y
      - .offset:         184
        .size:           8
        .value_kind:     hidden_global_offset_z
      - .offset:         192
        .size:           2
        .value_kind:     hidden_grid_dims
    .group_segment_fixed_size: 2304
    .kernarg_segment_align: 8
    .kernarg_segment_size: 384
    .language:       OpenCL C
    .language_version:
      - 2
      - 0
    .max_flat_workgroup_size: 64
    .name:           _ZN9rocsparseL11bsrilu0_2_8ILj64ELj64ELj8E21rocsparse_complex_numIdEEEv20rocsparse_direction_iPKiS5_PT2_S5_iPiS5_S8_21rocsparse_index_base_imNS_24const_host_device_scalarIfEENSA_IdEENSA_IS6_EEb
    .private_segment_fixed_size: 48
    .sgpr_count:     46
    .sgpr_spill_count: 0
    .symbol:         _ZN9rocsparseL11bsrilu0_2_8ILj64ELj64ELj8E21rocsparse_complex_numIdEEEv20rocsparse_direction_iPKiS5_PT2_S5_iPiS5_S8_21rocsparse_index_base_imNS_24const_host_device_scalarIfEENSA_IdEENSA_IS6_EEb.kd
    .uniform_work_group_size: 1
    .uses_dynamic_stack: false
    .vgpr_count:     43
    .vgpr_spill_count: 0
    .wavefront_size: 32
    .workgroup_processor_mode: 1
  - .args:
      - .offset:         0
        .size:           4
        .value_kind:     by_value
      - .offset:         4
        .size:           4
        .value_kind:     by_value
      - .address_space:  global
        .offset:         8
        .size:           8
        .value_kind:     global_buffer
      - .address_space:  global
        .offset:         16
        .size:           8
        .value_kind:     global_buffer
      - .address_space:  global
        .offset:         24
        .size:           8
        .value_kind:     global_buffer
      - .address_space:  global
        .offset:         32
        .size:           8
        .value_kind:     global_buffer
      - .offset:         40
        .size:           4
        .value_kind:     by_value
      - .address_space:  global
        .offset:         48
        .size:           8
        .value_kind:     global_buffer
      - .address_space:  global
        .offset:         56
        .size:           8
        .value_kind:     global_buffer
      - .address_space:  global
        .offset:         64
        .size:           8
        .value_kind:     global_buffer
      - .offset:         72
        .size:           4
        .value_kind:     by_value
      - .offset:         76
        .size:           4
        .value_kind:     by_value
      - .offset:         80
        .size:           8
        .value_kind:     by_value
      - .offset:         88
        .size:           8
        .value_kind:     by_value
      - .offset:         96
        .size:           8
        .value_kind:     by_value
      - .offset:         104
        .size:           16
        .value_kind:     by_value
      - .offset:         120
        .size:           1
        .value_kind:     by_value
    .group_segment_fixed_size: 8704
    .kernarg_segment_align: 8
    .kernarg_segment_size: 124
    .language:       OpenCL C
    .language_version:
      - 2
      - 0
    .max_flat_workgroup_size: 64
    .name:           _ZN9rocsparseL12bsrilu0_9_32ILj64ELj64ELj16E21rocsparse_complex_numIdEEEv20rocsparse_direction_iPKiS5_PT2_S5_iPiS5_S8_21rocsparse_index_base_imNS_24const_host_device_scalarIfEENSA_IdEENSA_IS6_EEb
    .private_segment_fixed_size: 48
    .sgpr_count:     51
    .sgpr_spill_count: 0
    .symbol:         _ZN9rocsparseL12bsrilu0_9_32ILj64ELj64ELj16E21rocsparse_complex_numIdEEEv20rocsparse_direction_iPKiS5_PT2_S5_iPiS5_S8_21rocsparse_index_base_imNS_24const_host_device_scalarIfEENSA_IdEENSA_IS6_EEb.kd
    .uniform_work_group_size: 1
    .uses_dynamic_stack: false
    .vgpr_count:     44
    .vgpr_spill_count: 0
    .wavefront_size: 32
    .workgroup_processor_mode: 1
  - .args:
      - .offset:         0
        .size:           4
        .value_kind:     by_value
      - .offset:         4
        .size:           4
        .value_kind:     by_value
      - .address_space:  global
        .offset:         8
        .size:           8
        .value_kind:     global_buffer
      - .address_space:  global
        .offset:         16
        .size:           8
        .value_kind:     global_buffer
      - .address_space:  global
        .offset:         24
        .size:           8
        .value_kind:     global_buffer
      - .address_space:  global
        .offset:         32
        .size:           8
        .value_kind:     global_buffer
      - .offset:         40
        .size:           4
        .value_kind:     by_value
      - .address_space:  global
        .offset:         48
        .size:           8
        .value_kind:     global_buffer
      - .address_space:  global
        .offset:         56
        .size:           8
        .value_kind:     global_buffer
      - .address_space:  global
        .offset:         64
        .size:           8
        .value_kind:     global_buffer
      - .offset:         72
        .size:           4
        .value_kind:     by_value
      - .offset:         76
        .size:           4
        .value_kind:     by_value
      - .offset:         80
        .size:           8
        .value_kind:     by_value
      - .offset:         88
        .size:           8
        .value_kind:     by_value
      - .offset:         96
        .size:           8
        .value_kind:     by_value
      - .offset:         104
        .size:           16
        .value_kind:     by_value
      - .offset:         120
        .size:           1
        .value_kind:     by_value
    .group_segment_fixed_size: 33792
    .kernarg_segment_align: 8
    .kernarg_segment_size: 124
    .language:       OpenCL C
    .language_version:
      - 2
      - 0
    .max_flat_workgroup_size: 64
    .name:           _ZN9rocsparseL12bsrilu0_9_32ILj64ELj64ELj32E21rocsparse_complex_numIdEEEv20rocsparse_direction_iPKiS5_PT2_S5_iPiS5_S8_21rocsparse_index_base_imNS_24const_host_device_scalarIfEENSA_IdEENSA_IS6_EEb
    .private_segment_fixed_size: 48
    .sgpr_count:     51
    .sgpr_spill_count: 0
    .symbol:         _ZN9rocsparseL12bsrilu0_9_32ILj64ELj64ELj32E21rocsparse_complex_numIdEEEv20rocsparse_direction_iPKiS5_PT2_S5_iPiS5_S8_21rocsparse_index_base_imNS_24const_host_device_scalarIfEENSA_IdEENSA_IS6_EEb.kd
    .uniform_work_group_size: 1
    .uses_dynamic_stack: false
    .vgpr_count:     44
    .vgpr_spill_count: 0
    .wavefront_size: 32
    .workgroup_processor_mode: 1
  - .args:
      - .offset:         0
        .size:           4
        .value_kind:     by_value
      - .offset:         4
        .size:           4
        .value_kind:     by_value
      - .address_space:  global
        .offset:         8
        .size:           8
        .value_kind:     global_buffer
      - .address_space:  global
        .offset:         16
        .size:           8
        .value_kind:     global_buffer
      - .address_space:  global
        .offset:         24
        .size:           8
        .value_kind:     global_buffer
      - .address_space:  global
        .offset:         32
        .size:           8
        .value_kind:     global_buffer
      - .offset:         40
        .size:           4
        .value_kind:     by_value
      - .address_space:  global
        .offset:         48
        .size:           8
        .value_kind:     global_buffer
      - .address_space:  global
        .offset:         56
        .size:           8
        .value_kind:     global_buffer
      - .address_space:  global
        .offset:         64
        .size:           8
        .value_kind:     global_buffer
      - .offset:         72
        .size:           4
        .value_kind:     by_value
      - .offset:         76
        .size:           4
        .value_kind:     by_value
      - .offset:         80
        .size:           8
        .value_kind:     by_value
      - .offset:         88
        .size:           8
        .value_kind:     by_value
      - .offset:         96
        .size:           8
        .value_kind:     by_value
      - .offset:         104
        .size:           16
        .value_kind:     by_value
      - .offset:         120
        .size:           1
        .value_kind:     by_value
    .group_segment_fixed_size: 0
    .kernarg_segment_align: 8
    .kernarg_segment_size: 124
    .language:       OpenCL C
    .language_version:
      - 2
      - 0
    .max_flat_workgroup_size: 128
    .name:           _ZN9rocsparseL15bsrilu0_generalILj128ELj64ELb0E21rocsparse_complex_numIdEEEv20rocsparse_direction_iPKiS5_PT2_S5_iPiS5_S8_21rocsparse_index_base_imNS_24const_host_device_scalarIfEENSA_IdEENSA_IS6_EEb
    .private_segment_fixed_size: 48
    .sgpr_count:     49
    .sgpr_spill_count: 0
    .symbol:         _ZN9rocsparseL15bsrilu0_generalILj128ELj64ELb0E21rocsparse_complex_numIdEEEv20rocsparse_direction_iPKiS5_PT2_S5_iPiS5_S8_21rocsparse_index_base_imNS_24const_host_device_scalarIfEENSA_IdEENSA_IS6_EEb.kd
    .uniform_work_group_size: 1
    .uses_dynamic_stack: false
    .vgpr_count:     50
    .vgpr_spill_count: 0
    .wavefront_size: 32
    .workgroup_processor_mode: 1
amdhsa.target:   amdgcn-amd-amdhsa--gfx1030
amdhsa.version:
  - 1
  - 2
...

	.end_amdgpu_metadata
